;; amdgpu-corpus repo=ROCm/rocFFT kind=compiled arch=gfx950 opt=O3
	.text
	.amdgcn_target "amdgcn-amd-amdhsa--gfx950"
	.amdhsa_code_object_version 6
	.protected	fft_rtc_fwd_len884_factors_13_4_17_wgs_204_tpt_68_halfLds_dp_ip_CI_unitstride_sbrr_R2C_dirReg ; -- Begin function fft_rtc_fwd_len884_factors_13_4_17_wgs_204_tpt_68_halfLds_dp_ip_CI_unitstride_sbrr_R2C_dirReg
	.globl	fft_rtc_fwd_len884_factors_13_4_17_wgs_204_tpt_68_halfLds_dp_ip_CI_unitstride_sbrr_R2C_dirReg
	.p2align	8
	.type	fft_rtc_fwd_len884_factors_13_4_17_wgs_204_tpt_68_halfLds_dp_ip_CI_unitstride_sbrr_R2C_dirReg,@function
fft_rtc_fwd_len884_factors_13_4_17_wgs_204_tpt_68_halfLds_dp_ip_CI_unitstride_sbrr_R2C_dirReg: ; @fft_rtc_fwd_len884_factors_13_4_17_wgs_204_tpt_68_halfLds_dp_ip_CI_unitstride_sbrr_R2C_dirReg
; %bb.0:
	s_load_dwordx2 s[8:9], s[0:1], 0x50
	s_load_dwordx4 s[4:7], s[0:1], 0x0
	s_load_dwordx2 s[10:11], s[0:1], 0x18
	v_mul_u32_u24_e32 v1, 0x3c4, v0
	v_lshrrev_b32_e32 v2, 16, v1
	v_mad_u64_u32 v[2:3], s[2:3], s2, 3, v[2:3]
	v_mov_b32_e32 v6, 0
	v_mov_b32_e32 v3, v6
	s_waitcnt lgkmcnt(0)
	v_cmp_lt_u64_e64 s[2:3], s[6:7], 2
	s_and_b64 vcc, exec, s[2:3]
	v_mov_b64_e32 v[4:5], 0
	v_mov_b64_e32 v[10:11], v[2:3]
	s_cbranch_vccnz .LBB0_8
; %bb.1:
	s_load_dwordx2 s[2:3], s[0:1], 0x10
	s_add_u32 s12, s10, 8
	s_addc_u32 s13, s11, 0
	s_mov_b64 s[14:15], 1
	v_mov_b64_e32 v[4:5], 0
	s_waitcnt lgkmcnt(0)
	s_add_u32 s16, s2, 8
	s_addc_u32 s17, s3, 0
	v_mov_b64_e32 v[8:9], v[2:3]
.LBB0_2:                                ; =>This Inner Loop Header: Depth=1
	s_load_dwordx2 s[18:19], s[16:17], 0x0
                                        ; implicit-def: $vgpr10_vgpr11
	s_waitcnt lgkmcnt(0)
	v_or_b32_e32 v7, s19, v9
	v_cmp_ne_u64_e32 vcc, 0, v[6:7]
	s_and_saveexec_b64 s[2:3], vcc
	s_xor_b64 s[20:21], exec, s[2:3]
	s_cbranch_execz .LBB0_4
; %bb.3:                                ;   in Loop: Header=BB0_2 Depth=1
	v_cvt_f32_u32_e32 v1, s18
	v_cvt_f32_u32_e32 v3, s19
	s_sub_u32 s2, 0, s18
	s_subb_u32 s3, 0, s19
	v_fmac_f32_e32 v1, 0x4f800000, v3
	v_rcp_f32_e32 v1, v1
	s_nop 0
	v_mul_f32_e32 v1, 0x5f7ffffc, v1
	v_mul_f32_e32 v3, 0x2f800000, v1
	v_trunc_f32_e32 v3, v3
	v_fmac_f32_e32 v1, 0xcf800000, v3
	v_cvt_u32_f32_e32 v3, v3
	v_cvt_u32_f32_e32 v1, v1
	v_mul_lo_u32 v7, s2, v3
	v_mul_hi_u32 v10, s2, v1
	v_mul_lo_u32 v11, s3, v1
	v_add_u32_e32 v7, v10, v7
	v_mul_lo_u32 v14, s2, v1
	v_add_u32_e32 v7, v7, v11
	v_mul_hi_u32 v10, v1, v14
	v_mul_hi_u32 v13, v1, v7
	v_mul_lo_u32 v12, v1, v7
	v_mov_b32_e32 v11, v6
	v_lshl_add_u64 v[10:11], v[10:11], 0, v[12:13]
	v_mul_hi_u32 v13, v3, v14
	v_mul_lo_u32 v14, v3, v14
	v_add_co_u32_e32 v10, vcc, v10, v14
	v_mul_hi_u32 v12, v3, v7
	s_nop 0
	v_addc_co_u32_e32 v10, vcc, v11, v13, vcc
	v_mov_b32_e32 v11, v6
	s_nop 0
	v_addc_co_u32_e32 v13, vcc, 0, v12, vcc
	v_mul_lo_u32 v12, v3, v7
	v_lshl_add_u64 v[10:11], v[10:11], 0, v[12:13]
	v_add_co_u32_e32 v1, vcc, v1, v10
	v_mul_hi_u32 v10, s2, v1
	s_nop 0
	v_addc_co_u32_e32 v3, vcc, v3, v11, vcc
	v_mul_lo_u32 v7, s2, v3
	v_add_u32_e32 v7, v10, v7
	v_mul_lo_u32 v10, s3, v1
	v_add_u32_e32 v7, v7, v10
	v_mul_lo_u32 v12, s2, v1
	v_mul_hi_u32 v15, v3, v12
	v_mul_lo_u32 v16, v3, v12
	v_mul_hi_u32 v11, v1, v7
	;; [unrolled: 2-line block ×3, first 2 shown]
	v_mov_b32_e32 v13, v6
	v_lshl_add_u64 v[10:11], v[12:13], 0, v[10:11]
	v_add_co_u32_e32 v10, vcc, v10, v16
	v_mul_hi_u32 v14, v3, v7
	s_nop 0
	v_addc_co_u32_e32 v10, vcc, v11, v15, vcc
	v_mul_lo_u32 v12, v3, v7
	s_nop 0
	v_addc_co_u32_e32 v13, vcc, 0, v14, vcc
	v_mov_b32_e32 v11, v6
	v_lshl_add_u64 v[10:11], v[10:11], 0, v[12:13]
	v_add_co_u32_e32 v1, vcc, v1, v10
	v_mul_hi_u32 v12, v8, v1
	s_nop 0
	v_addc_co_u32_e32 v3, vcc, v3, v11, vcc
	v_mad_u64_u32 v[10:11], s[2:3], v8, v3, 0
	v_mov_b32_e32 v13, v6
	v_lshl_add_u64 v[10:11], v[12:13], 0, v[10:11]
	v_mad_u64_u32 v[14:15], s[2:3], v9, v1, 0
	v_add_co_u32_e32 v1, vcc, v10, v14
	v_mad_u64_u32 v[12:13], s[2:3], v9, v3, 0
	s_nop 0
	v_addc_co_u32_e32 v10, vcc, v11, v15, vcc
	v_mov_b32_e32 v11, v6
	s_nop 0
	v_addc_co_u32_e32 v13, vcc, 0, v13, vcc
	v_lshl_add_u64 v[10:11], v[10:11], 0, v[12:13]
	v_mul_lo_u32 v1, s19, v10
	v_mul_lo_u32 v3, s18, v11
	v_mad_u64_u32 v[12:13], s[2:3], s18, v10, 0
	v_add3_u32 v1, v13, v3, v1
	v_sub_u32_e32 v3, v9, v1
	v_mov_b32_e32 v7, s19
	v_sub_co_u32_e32 v16, vcc, v8, v12
	v_lshl_add_u64 v[14:15], v[10:11], 0, 1
	s_nop 0
	v_subb_co_u32_e64 v3, s[2:3], v3, v7, vcc
	v_subrev_co_u32_e64 v7, s[2:3], s18, v16
	v_subb_co_u32_e32 v1, vcc, v9, v1, vcc
	s_nop 0
	v_subbrev_co_u32_e64 v3, s[2:3], 0, v3, s[2:3]
	v_cmp_le_u32_e64 s[2:3], s19, v3
	v_cmp_le_u32_e32 vcc, s19, v1
	s_nop 0
	v_cndmask_b32_e64 v12, 0, -1, s[2:3]
	v_cmp_le_u32_e64 s[2:3], s18, v7
	s_nop 1
	v_cndmask_b32_e64 v7, 0, -1, s[2:3]
	v_cmp_eq_u32_e64 s[2:3], s19, v3
	s_nop 1
	v_cndmask_b32_e64 v3, v12, v7, s[2:3]
	v_lshl_add_u64 v[12:13], v[10:11], 0, 2
	v_cmp_ne_u32_e64 s[2:3], 0, v3
	v_cndmask_b32_e64 v7, 0, -1, vcc
	v_cmp_le_u32_e32 vcc, s18, v16
	v_cndmask_b32_e64 v3, v15, v13, s[2:3]
	s_nop 0
	v_cndmask_b32_e64 v13, 0, -1, vcc
	v_cmp_eq_u32_e32 vcc, s19, v1
	s_nop 1
	v_cndmask_b32_e32 v1, v7, v13, vcc
	v_cmp_ne_u32_e32 vcc, 0, v1
	v_cndmask_b32_e64 v1, v14, v12, s[2:3]
	s_nop 0
	v_cndmask_b32_e32 v11, v11, v3, vcc
	v_cndmask_b32_e32 v10, v10, v1, vcc
.LBB0_4:                                ;   in Loop: Header=BB0_2 Depth=1
	s_andn2_saveexec_b64 s[2:3], s[20:21]
	s_cbranch_execz .LBB0_6
; %bb.5:                                ;   in Loop: Header=BB0_2 Depth=1
	v_cvt_f32_u32_e32 v1, s18
	s_sub_i32 s20, 0, s18
	v_mov_b32_e32 v11, v6
	v_rcp_iflag_f32_e32 v1, v1
	s_nop 0
	v_mul_f32_e32 v1, 0x4f7ffffe, v1
	v_cvt_u32_f32_e32 v1, v1
	v_mul_lo_u32 v3, s20, v1
	v_mul_hi_u32 v3, v1, v3
	v_add_u32_e32 v1, v1, v3
	v_mul_hi_u32 v1, v8, v1
	v_mul_lo_u32 v3, v1, s18
	v_sub_u32_e32 v3, v8, v3
	v_add_u32_e32 v7, 1, v1
	v_subrev_u32_e32 v10, s18, v3
	v_cmp_le_u32_e32 vcc, s18, v3
	s_nop 1
	v_cndmask_b32_e32 v3, v3, v10, vcc
	v_cndmask_b32_e32 v1, v1, v7, vcc
	v_add_u32_e32 v7, 1, v1
	v_cmp_le_u32_e32 vcc, s18, v3
	s_nop 1
	v_cndmask_b32_e32 v10, v1, v7, vcc
.LBB0_6:                                ;   in Loop: Header=BB0_2 Depth=1
	s_or_b64 exec, exec, s[2:3]
	v_mad_u64_u32 v[12:13], s[2:3], v10, s18, 0
	s_load_dwordx2 s[2:3], s[12:13], 0x0
	s_add_u32 s14, s14, 1
	v_mul_lo_u32 v1, v11, s18
	v_mul_lo_u32 v3, v10, s19
	s_addc_u32 s15, s15, 0
	v_add3_u32 v1, v13, v3, v1
	v_sub_co_u32_e32 v3, vcc, v8, v12
	s_add_u32 s12, s12, 8
	s_nop 0
	v_subb_co_u32_e32 v1, vcc, v9, v1, vcc
	s_addc_u32 s13, s13, 0
	v_mov_b64_e32 v[8:9], s[6:7]
	s_waitcnt lgkmcnt(0)
	v_mul_lo_u32 v1, s2, v1
	v_mul_lo_u32 v7, s3, v3
	v_mad_u64_u32 v[4:5], s[2:3], s2, v3, v[4:5]
	s_add_u32 s16, s16, 8
	v_cmp_ge_u64_e32 vcc, s[14:15], v[8:9]
	v_add3_u32 v5, v7, v5, v1
	s_addc_u32 s17, s17, 0
	s_cbranch_vccnz .LBB0_8
; %bb.7:                                ;   in Loop: Header=BB0_2 Depth=1
	v_mov_b64_e32 v[8:9], v[10:11]
	s_branch .LBB0_2
.LBB0_8:
	s_lshl_b64 s[2:3], s[6:7], 3
	s_add_u32 s2, s10, s2
	s_addc_u32 s3, s11, s3
	s_load_dwordx2 s[6:7], s[2:3], 0x0
	s_load_dwordx2 s[10:11], s[0:1], 0x20
	s_mov_b32 s2, 0x3c3c3c4
                                        ; implicit-def: $vgpr76
                                        ; implicit-def: $vgpr80
                                        ; implicit-def: $vgpr78
	s_waitcnt lgkmcnt(0)
	v_mad_u64_u32 v[4:5], s[0:1], s6, v10, v[4:5]
	v_mul_lo_u32 v1, s6, v11
	v_mul_lo_u32 v3, s7, v10
	s_mov_b32 s0, 0xaaaaaaab
	v_add3_u32 v5, v3, v5, v1
	v_mul_hi_u32 v1, v2, s0
	v_lshrrev_b32_e32 v1, 1, v1
	v_lshl_add_u32 v1, v1, 1, v1
	v_sub_u32_e32 v1, v2, v1
	v_mul_hi_u32 v2, v0, s2
	v_mul_u32_u24_e32 v2, 0x44, v2
	v_cmp_gt_u64_e64 s[0:1], s[10:11], v[10:11]
	v_cmp_le_u64_e32 vcc, s[10:11], v[10:11]
	v_sub_u32_e32 v72, v0, v2
	s_and_saveexec_b64 s[2:3], vcc
	s_xor_b64 s[2:3], exec, s[2:3]
; %bb.9:
	v_add_u32_e32 v76, 0x44, v72
	v_add_u32_e32 v80, 0x88, v72
	v_add_u32_e32 v78, 0xcc, v72
; %bb.10:
	s_or_saveexec_b64 s[2:3], s[2:3]
	v_mul_u32_u24_e32 v0, 0x375, v1
	v_lshl_add_u64 v[74:75], v[4:5], 4, s[8:9]
	v_lshlrev_b32_e32 v79, 4, v0
	v_lshlrev_b32_e32 v77, 4, v72
	s_xor_b64 exec, exec, s[2:3]
	s_cbranch_execz .LBB0_12
; %bb.11:
	v_mov_b32_e32 v73, 0
	v_lshl_add_u64 v[48:49], v[72:73], 4, v[74:75]
	s_movk_i32 s6, 0x1000
	v_add_co_u32_e32 v32, vcc, s6, v48
	s_movk_i32 s6, 0x2000
	s_nop 0
	v_addc_co_u32_e32 v33, vcc, 0, v49, vcc
	v_add_co_u32_e32 v50, vcc, s6, v48
	global_load_dwordx4 v[0:3], v[48:49], off
	global_load_dwordx4 v[4:7], v[48:49], off offset:1088
	global_load_dwordx4 v[8:11], v[48:49], off offset:2176
	;; [unrolled: 1-line block ×3, first 2 shown]
	v_addc_co_u32_e32 v51, vcc, 0, v49, vcc
	global_load_dwordx4 v[16:19], v[32:33], off offset:256
	global_load_dwordx4 v[20:23], v[32:33], off offset:1344
	;; [unrolled: 1-line block ×4, first 2 shown]
	s_nop 0
	global_load_dwordx4 v[32:35], v[50:51], off offset:512
	global_load_dwordx4 v[36:39], v[50:51], off offset:1600
	;; [unrolled: 1-line block ×4, first 2 shown]
	v_add_co_u32_e32 v48, vcc, 0x3000, v48
	v_add3_u32 v52, 0, v79, v77
	s_nop 0
	v_addc_co_u32_e32 v49, vcc, 0, v49, vcc
	global_load_dwordx4 v[48:51], v[48:49], off offset:768
	v_add_u32_e32 v76, 0x44, v72
	v_add_u32_e32 v80, 0x88, v72
	;; [unrolled: 1-line block ×3, first 2 shown]
	s_waitcnt vmcnt(12)
	ds_write_b128 v52, v[0:3]
	s_waitcnt vmcnt(11)
	ds_write_b128 v52, v[4:7] offset:1088
	s_waitcnt vmcnt(10)
	ds_write_b128 v52, v[8:11] offset:2176
	;; [unrolled: 2-line block ×12, first 2 shown]
.LBB0_12:
	s_or_b64 exec, exec, s[2:3]
	v_add_u32_e32 v195, 0, v79
	v_add_u32_e32 v194, v195, v77
	s_waitcnt lgkmcnt(0)
	s_barrier
	v_add3_u32 v73, 0, v77, v79
	ds_read_b128 v[4:7], v194
	ds_read_b128 v[40:43], v73 offset:1088
	ds_read_b128 v[36:39], v73 offset:2176
	;; [unrolled: 1-line block ×9, first 2 shown]
	s_waitcnt lgkmcnt(8)
	v_add_f64 v[0:1], v[4:5], v[40:41]
	s_waitcnt lgkmcnt(7)
	v_add_f64 v[0:1], v[0:1], v[36:37]
	v_add_f64 v[2:3], v[6:7], v[42:43]
	s_waitcnt lgkmcnt(6)
	v_add_f64 v[0:1], v[0:1], v[32:33]
	;; [unrolled: 3-line block ×4, first 2 shown]
	ds_read_b128 v[48:51], v73 offset:10880
	ds_read_b128 v[44:47], v73 offset:11968
	v_add_f64 v[2:3], v[2:3], v[26:27]
	s_waitcnt lgkmcnt(5)
	v_add_f64 v[0:1], v[0:1], v[8:9]
	v_add_f64 v[2:3], v[2:3], v[18:19]
	s_waitcnt lgkmcnt(4)
	v_add_f64 v[0:1], v[0:1], v[12:13]
	ds_read_b128 v[58:61], v73 offset:13056
	v_add_f64 v[2:3], v[2:3], v[10:11]
	s_waitcnt lgkmcnt(4)
	v_add_f64 v[0:1], v[0:1], v[20:21]
	v_add_f64 v[2:3], v[2:3], v[14:15]
	s_waitcnt lgkmcnt(3)
	v_add_f64 v[0:1], v[0:1], v[28:29]
	;; [unrolled: 3-line block ×4, first 2 shown]
	s_mov_b32 s24, 0x66966769
	v_add_f64 v[2:3], v[2:3], v[50:51]
	s_waitcnt lgkmcnt(0)
	v_add_f64 v[0:1], v[0:1], v[58:59]
	v_add_f64 v[56:57], v[40:41], v[58:59]
	v_add_f64 v[54:55], v[40:41], -v[58:59]
	v_add_f64 v[58:59], v[42:43], -v[60:61]
	s_mov_b32 s22, 0x42a4c3d2
	s_mov_b32 s25, 0xbfefc445
	;; [unrolled: 1-line block ×6, first 2 shown]
	v_add_f64 v[2:3], v[2:3], v[46:47]
	v_add_f64 v[40:41], v[38:39], v[46:47]
	v_add_f64 v[38:39], v[38:39], -v[46:47]
	v_add_f64 v[46:47], v[32:33], v[48:49]
	v_add_f64 v[32:33], v[32:33], -v[48:49]
	v_add_f64 v[48:49], v[26:27], v[30:31]
	v_add_f64 v[26:27], v[26:27], -v[30:31]
	v_add_f64 v[30:31], v[16:17], v[20:21]
	v_add_f64 v[20:21], v[16:17], -v[20:21]
	s_mov_b32 s17, 0xbfddbe06
	s_mov_b32 s16, 0x4267c47c
	s_mov_b32 s8, 0xe00740e9
	s_mov_b32 s23, 0xbfea55e2
	s_mov_b32 s6, 0x1ea71119
	s_mov_b32 s3, 0x3fbedb7d
	v_mul_f64 v[16:17], v[58:59], s[24:25]
	s_mov_b32 s15, 0xbfedeba7
	s_mov_b32 s10, 0xb2365da1
	;; [unrolled: 1-line block ×6, first 2 shown]
	v_add_f64 v[52:53], v[42:43], v[60:61]
	v_add_f64 v[42:43], v[36:37], v[44:45]
	v_add_f64 v[36:37], v[36:37], -v[44:45]
	v_add_f64 v[44:45], v[34:35], v[50:51]
	v_add_f64 v[34:35], v[34:35], -v[50:51]
	;; [unrolled: 2-line block ×5, first 2 shown]
	s_mov_b32 s9, 0x3fec55a7
	v_mul_f64 v[8:9], v[58:59], s[16:17]
	s_mov_b32 s7, 0x3fe22d96
	v_mul_f64 v[12:13], v[58:59], s[22:23]
	v_fma_f64 v[18:19], v[56:57], s[2:3], -v[16:17]
	v_fmac_f64_e32 v[16:17], s[2:3], v[56:57]
	s_mov_b32 s11, 0xbfd6b1d8
	v_mul_f64 v[68:69], v[58:59], s[14:15]
	s_mov_b32 s13, 0xbfe7f3cc
	v_mul_f64 v[84:85], v[58:59], s[18:19]
	v_mul_f64 v[86:87], v[58:59], s[28:29]
	s_mov_b32 s21, 0xbfef11f4
	v_add_f64 v[2:3], v[2:3], v[60:61]
	v_add_f64 v[60:61], v[10:11], v[14:15]
	v_add_f64 v[66:67], v[10:11], -v[14:15]
	v_fma_f64 v[10:11], v[56:57], s[8:9], -v[8:9]
	v_fmac_f64_e32 v[8:9], s[8:9], v[56:57]
	v_fma_f64 v[14:15], v[56:57], s[6:7], -v[12:13]
	v_fmac_f64_e32 v[12:13], s[6:7], v[56:57]
	v_fma_f64 v[70:71], v[56:57], s[10:11], -v[68:69]
	v_fmac_f64_e32 v[68:69], s[10:11], v[56:57]
	v_fma_f64 v[82:83], v[56:57], s[12:13], -v[84:85]
	v_fmac_f64_e32 v[84:85], s[12:13], v[56:57]
	v_fma_f64 v[58:59], v[56:57], s[20:21], -v[86:87]
	v_fmac_f64_e32 v[86:87], s[20:21], v[56:57]
	v_mul_f64 v[56:57], v[54:55], s[16:17]
	v_mul_f64 v[90:91], v[54:55], s[22:23]
	;; [unrolled: 1-line block ×6, first 2 shown]
	v_add_f64 v[112:113], v[4:5], v[16:17]
	v_mul_f64 v[16:17], v[38:39], s[22:23]
	v_fma_f64 v[88:89], s[8:9], v[52:53], v[56:57]
	v_fma_f64 v[56:57], v[52:53], s[8:9], -v[56:57]
	v_fma_f64 v[92:93], s[6:7], v[52:53], v[90:91]
	v_fma_f64 v[90:91], v[52:53], s[6:7], -v[90:91]
	;; [unrolled: 2-line block ×6, first 2 shown]
	v_add_f64 v[10:11], v[4:5], v[10:11]
	v_add_f64 v[8:9], v[4:5], v[8:9]
	;; [unrolled: 1-line block ×11, first 2 shown]
	v_fma_f64 v[4:5], v[42:43], s[6:7], -v[16:17]
	v_mul_f64 v[18:19], v[34:35], s[24:25]
	v_add_f64 v[4:5], v[4:5], v[10:11]
	v_mul_f64 v[10:11], v[36:37], s[22:23]
	v_fma_f64 v[84:85], v[46:47], s[2:3], -v[18:19]
	v_add_f64 v[88:89], v[6:7], v[88:89]
	v_add_f64 v[108:109], v[6:7], v[56:57]
	v_add_f64 v[92:93], v[6:7], v[92:93]
	v_add_f64 v[90:91], v[6:7], v[90:91]
	v_add_f64 v[96:97], v[6:7], v[96:97]
	v_add_f64 v[94:95], v[6:7], v[94:95]
	v_add_f64 v[100:101], v[6:7], v[100:101]
	v_add_f64 v[98:99], v[6:7], v[98:99]
	v_add_f64 v[82:83], v[6:7], v[104:105]
	v_add_f64 v[68:69], v[6:7], v[102:103]
	v_add_f64 v[56:57], v[6:7], v[106:107]
	v_add_f64 v[52:53], v[6:7], v[52:53]
	v_fma_f64 v[6:7], s[6:7], v[40:41], v[10:11]
	v_add_f64 v[4:5], v[84:85], v[4:5]
	v_mul_f64 v[84:85], v[32:33], s[24:25]
	v_add_f64 v[6:7], v[6:7], v[88:89]
	v_fma_f64 v[86:87], s[2:3], v[44:45], v[84:85]
	v_add_f64 v[6:7], v[86:87], v[6:7]
	v_mul_f64 v[86:87], v[26:27], s[14:15]
	v_fma_f64 v[88:89], v[50:51], s[10:11], -v[86:87]
	v_add_f64 v[4:5], v[88:89], v[4:5]
	v_mul_f64 v[88:89], v[24:25], s[14:15]
	v_fma_f64 v[102:103], s[10:11], v[48:49], v[88:89]
	v_add_f64 v[6:7], v[102:103], v[6:7]
	v_mul_f64 v[102:103], v[22:23], s[18:19]
	v_fma_f64 v[104:105], v[30:31], s[12:13], -v[102:103]
	v_add_f64 v[4:5], v[104:105], v[4:5]
	v_mul_f64 v[104:105], v[20:21], s[18:19]
	v_fma_f64 v[106:107], s[12:13], v[28:29], v[104:105]
	v_fmac_f64_e32 v[16:17], s[6:7], v[42:43]
	v_fma_f64 v[10:11], v[40:41], s[6:7], -v[10:11]
	v_add_f64 v[6:7], v[106:107], v[6:7]
	v_mul_f64 v[106:107], v[66:67], s[28:29]
	v_add_f64 v[8:9], v[16:17], v[8:9]
	v_add_f64 v[10:11], v[10:11], v[108:109]
	v_fma_f64 v[16:17], v[44:45], s[2:3], -v[84:85]
	v_fma_f64 v[120:121], v[62:63], s[20:21], -v[106:107]
	v_add_f64 v[10:11], v[16:17], v[10:11]
	v_fma_f64 v[16:17], v[48:49], s[10:11], -v[88:89]
	v_add_f64 v[4:5], v[120:121], v[4:5]
	v_mul_f64 v[120:121], v[64:65], s[28:29]
	v_fmac_f64_e32 v[18:19], s[2:3], v[46:47]
	v_add_f64 v[10:11], v[16:17], v[10:11]
	v_fma_f64 v[16:17], v[28:29], s[12:13], -v[104:105]
	v_add_f64 v[8:9], v[18:19], v[8:9]
	v_fmac_f64_e32 v[86:87], s[10:11], v[50:51]
	v_add_f64 v[10:11], v[16:17], v[10:11]
	v_fma_f64 v[16:17], v[60:61], s[20:21], -v[120:121]
	v_mul_f64 v[84:85], v[38:39], s[14:15]
	v_add_f64 v[8:9], v[86:87], v[8:9]
	v_add_f64 v[10:11], v[16:17], v[10:11]
	v_fma_f64 v[16:17], v[42:43], s[10:11], -v[84:85]
	v_mul_f64 v[86:87], v[36:37], s[14:15]
	v_add_f64 v[14:15], v[16:17], v[14:15]
	v_fma_f64 v[16:17], s[10:11], v[40:41], v[86:87]
	v_mul_f64 v[88:89], v[34:35], s[28:29]
	v_fmac_f64_e32 v[102:103], s[12:13], v[30:31]
	v_add_f64 v[16:17], v[16:17], v[92:93]
	v_fma_f64 v[18:19], v[46:47], s[20:21], -v[88:89]
	v_mul_f64 v[92:93], v[32:33], s[28:29]
	s_mov_b32 s31, 0x3fe5384d
	s_mov_b32 s30, s18
	v_add_f64 v[8:9], v[102:103], v[8:9]
	v_add_f64 v[14:15], v[18:19], v[14:15]
	v_fma_f64 v[18:19], s[20:21], v[44:45], v[92:93]
	v_mul_f64 v[102:103], v[26:27], s[30:31]
	v_fmac_f64_e32 v[106:107], s[20:21], v[62:63]
	v_add_f64 v[16:17], v[18:19], v[16:17]
	v_fma_f64 v[18:19], v[50:51], s[12:13], -v[102:103]
	v_mul_f64 v[104:105], v[24:25], s[30:31]
	s_mov_b32 s27, 0x3fefc445
	s_mov_b32 s26, s24
	v_add_f64 v[8:9], v[106:107], v[8:9]
	v_add_f64 v[14:15], v[18:19], v[14:15]
	v_fma_f64 v[18:19], s[12:13], v[48:49], v[104:105]
	v_mul_f64 v[106:107], v[22:23], s[26:27]
	v_fmac_f64_e32 v[84:85], s[10:11], v[42:43]
	v_add_f64 v[16:17], v[18:19], v[16:17]
	v_fma_f64 v[18:19], v[30:31], s[2:3], -v[106:107]
	v_mul_f64 v[108:109], v[20:21], s[26:27]
	s_mov_b32 s17, 0x3fddbe06
	v_add_f64 v[12:13], v[84:85], v[12:13]
	v_fma_f64 v[84:85], v[40:41], s[10:11], -v[86:87]
	v_fma_f64 v[122:123], s[20:21], v[60:61], v[120:121]
	v_add_f64 v[14:15], v[18:19], v[14:15]
	v_fma_f64 v[18:19], s[2:3], v[28:29], v[108:109]
	v_mul_f64 v[120:121], v[66:67], s[16:17]
	v_add_f64 v[84:85], v[84:85], v[90:91]
	v_fma_f64 v[86:87], v[44:45], s[20:21], -v[92:93]
	v_add_f64 v[18:19], v[18:19], v[16:17]
	v_fma_f64 v[16:17], v[62:63], s[8:9], -v[120:121]
	;; [unrolled: 2-line block ×3, first 2 shown]
	v_add_f64 v[16:17], v[16:17], v[14:15]
	v_mul_f64 v[14:15], v[64:65], s[16:17]
	v_fmac_f64_e32 v[88:89], s[20:21], v[46:47]
	v_add_f64 v[84:85], v[86:87], v[84:85]
	v_fma_f64 v[86:87], v[28:29], s[2:3], -v[108:109]
	v_add_f64 v[6:7], v[122:123], v[6:7]
	v_fma_f64 v[122:123], s[8:9], v[60:61], v[14:15]
	v_add_f64 v[12:13], v[88:89], v[12:13]
	v_add_f64 v[84:85], v[86:87], v[84:85]
	v_fma_f64 v[14:15], v[60:61], s[8:9], -v[14:15]
	v_mul_f64 v[88:89], v[38:39], s[28:29]
	v_mul_f64 v[90:91], v[36:37], s[28:29]
	s_mov_b32 s35, 0x3fedeba7
	s_mov_b32 s34, s14
	v_add_f64 v[14:15], v[14:15], v[84:85]
	v_fma_f64 v[84:85], v[42:43], s[20:21], -v[88:89]
	v_fma_f64 v[86:87], s[20:21], v[40:41], v[90:91]
	v_mul_f64 v[92:93], v[34:35], s[34:35]
	v_add_f64 v[84:85], v[84:85], v[110:111]
	v_add_f64 v[86:87], v[86:87], v[96:97]
	v_fma_f64 v[96:97], v[46:47], s[10:11], -v[92:93]
	v_fmac_f64_e32 v[102:103], s[12:13], v[50:51]
	v_add_f64 v[84:85], v[96:97], v[84:85]
	v_mul_f64 v[96:97], v[32:33], s[34:35]
	v_add_f64 v[12:13], v[102:103], v[12:13]
	v_fma_f64 v[102:103], s[10:11], v[44:45], v[96:97]
	v_add_f64 v[86:87], v[102:103], v[86:87]
	v_mul_f64 v[102:103], v[26:27], s[16:17]
	v_fma_f64 v[104:105], v[50:51], s[8:9], -v[102:103]
	v_fmac_f64_e32 v[106:107], s[2:3], v[30:31]
	v_add_f64 v[84:85], v[104:105], v[84:85]
	v_mul_f64 v[104:105], v[24:25], s[16:17]
	v_add_f64 v[12:13], v[106:107], v[12:13]
	v_fma_f64 v[106:107], s[8:9], v[48:49], v[104:105]
	v_add_f64 v[86:87], v[106:107], v[86:87]
	v_mul_f64 v[106:107], v[22:23], s[22:23]
	v_fma_f64 v[108:109], v[30:31], s[6:7], -v[106:107]
	v_add_f64 v[84:85], v[108:109], v[84:85]
	v_mul_f64 v[108:109], v[20:21], s[22:23]
	v_fmac_f64_e32 v[88:89], s[20:21], v[42:43]
	v_fma_f64 v[110:111], s[6:7], v[28:29], v[108:109]
	v_add_f64 v[88:89], v[88:89], v[112:113]
	v_fma_f64 v[90:91], v[40:41], s[20:21], -v[90:91]
	v_fmac_f64_e32 v[92:93], s[10:11], v[46:47]
	v_fmac_f64_e32 v[120:121], s[8:9], v[62:63]
	v_add_f64 v[86:87], v[110:111], v[86:87]
	v_mul_f64 v[110:111], v[66:67], s[18:19]
	v_add_f64 v[90:91], v[90:91], v[94:95]
	v_add_f64 v[88:89], v[92:93], v[88:89]
	v_fma_f64 v[92:93], v[44:45], s[10:11], -v[96:97]
	v_add_f64 v[12:13], v[120:121], v[12:13]
	v_fma_f64 v[120:121], v[62:63], s[12:13], -v[110:111]
	v_add_f64 v[90:91], v[92:93], v[90:91]
	v_fmac_f64_e32 v[102:103], s[8:9], v[50:51]
	v_fma_f64 v[92:93], v[48:49], s[8:9], -v[104:105]
	v_add_f64 v[84:85], v[120:121], v[84:85]
	v_mul_f64 v[120:121], v[64:65], s[18:19]
	v_add_f64 v[88:89], v[102:103], v[88:89]
	v_add_f64 v[90:91], v[92:93], v[90:91]
	v_fma_f64 v[92:93], v[28:29], s[6:7], -v[108:109]
	v_mul_f64 v[102:103], v[36:37], s[30:31]
	v_add_f64 v[90:91], v[92:93], v[90:91]
	v_fma_f64 v[92:93], v[60:61], s[12:13], -v[120:121]
	v_mul_f64 v[96:97], v[38:39], s[30:31]
	v_fma_f64 v[94:95], s[12:13], v[40:41], v[102:103]
	v_add_f64 v[90:91], v[92:93], v[90:91]
	v_fma_f64 v[92:93], v[42:43], s[12:13], -v[96:97]
	v_add_f64 v[94:95], v[94:95], v[100:101]
	v_mul_f64 v[100:101], v[34:35], s[16:17]
	v_add_f64 v[92:93], v[92:93], v[114:115]
	v_fma_f64 v[104:105], v[46:47], s[8:9], -v[100:101]
	v_fmac_f64_e32 v[106:107], s[6:7], v[30:31]
	v_add_f64 v[92:93], v[104:105], v[92:93]
	v_mul_f64 v[104:105], v[32:33], s[16:17]
	v_add_f64 v[88:89], v[106:107], v[88:89]
	v_fma_f64 v[106:107], s[8:9], v[44:45], v[104:105]
	v_add_f64 v[94:95], v[106:107], v[94:95]
	v_mul_f64 v[106:107], v[26:27], s[24:25]
	v_fma_f64 v[108:109], v[50:51], s[2:3], -v[106:107]
	v_fmac_f64_e32 v[110:111], s[12:13], v[62:63]
	v_add_f64 v[92:93], v[108:109], v[92:93]
	v_mul_f64 v[108:109], v[24:25], s[24:25]
	v_add_f64 v[88:89], v[110:111], v[88:89]
	v_fma_f64 v[110:111], s[2:3], v[48:49], v[108:109]
	s_mov_b32 s29, 0x3fcea1e5
	v_add_f64 v[94:95], v[110:111], v[94:95]
	v_mul_f64 v[110:111], v[22:23], s[28:29]
	v_fma_f64 v[112:113], v[30:31], s[20:21], -v[110:111]
	v_add_f64 v[92:93], v[112:113], v[92:93]
	v_mul_f64 v[112:113], v[20:21], s[28:29]
	v_fmac_f64_e32 v[96:97], s[12:13], v[42:43]
	v_fma_f64 v[114:115], s[20:21], v[28:29], v[112:113]
	s_mov_b32 s25, 0x3fea55e2
	s_mov_b32 s24, s22
	v_add_f64 v[96:97], v[96:97], v[116:117]
	v_fma_f64 v[102:103], v[40:41], s[12:13], -v[102:103]
	v_fmac_f64_e32 v[100:101], s[8:9], v[46:47]
	v_add_f64 v[94:95], v[114:115], v[94:95]
	v_mul_f64 v[114:115], v[66:67], s[24:25]
	v_add_f64 v[98:99], v[102:103], v[98:99]
	v_add_f64 v[96:97], v[100:101], v[96:97]
	v_fma_f64 v[100:101], v[44:45], s[8:9], -v[104:105]
	v_add_f64 v[18:19], v[122:123], v[18:19]
	v_fma_f64 v[122:123], s[12:13], v[60:61], v[120:121]
	v_fma_f64 v[120:121], v[62:63], s[6:7], -v[114:115]
	v_add_f64 v[98:99], v[100:101], v[98:99]
	v_fma_f64 v[100:101], v[48:49], s[2:3], -v[108:109]
	v_add_f64 v[92:93], v[120:121], v[92:93]
	v_mul_f64 v[120:121], v[64:65], s[24:25]
	v_fmac_f64_e32 v[106:107], s[2:3], v[50:51]
	v_add_f64 v[98:99], v[100:101], v[98:99]
	v_fma_f64 v[100:101], v[28:29], s[20:21], -v[112:113]
	v_add_f64 v[96:97], v[106:107], v[96:97]
	v_add_f64 v[98:99], v[100:101], v[98:99]
	v_fma_f64 v[100:101], v[60:61], s[6:7], -v[120:121]
	v_mul_f64 v[104:105], v[38:39], s[26:27]
	v_mul_f64 v[106:107], v[36:37], s[26:27]
	v_fmac_f64_e32 v[110:111], s[20:21], v[30:31]
	v_add_f64 v[98:99], v[100:101], v[98:99]
	v_fma_f64 v[100:101], v[42:43], s[2:3], -v[104:105]
	v_fma_f64 v[102:103], s[2:3], v[40:41], v[106:107]
	v_mul_f64 v[108:109], v[34:35], s[22:23]
	v_add_f64 v[96:97], v[110:111], v[96:97]
	v_add_f64 v[100:101], v[100:101], v[118:119]
	;; [unrolled: 1-line block ×3, first 2 shown]
	v_fma_f64 v[102:103], v[46:47], s[6:7], -v[108:109]
	v_mul_f64 v[110:111], v[32:33], s[22:23]
	v_fmac_f64_e32 v[114:115], s[6:7], v[62:63]
	v_add_f64 v[100:101], v[102:103], v[100:101]
	v_fma_f64 v[102:103], s[6:7], v[44:45], v[110:111]
	v_mul_f64 v[112:113], v[26:27], s[28:29]
	v_add_f64 v[96:97], v[114:115], v[96:97]
	v_add_f64 v[82:83], v[102:103], v[82:83]
	v_fma_f64 v[102:103], v[50:51], s[20:21], -v[112:113]
	v_mul_f64 v[114:115], v[24:25], s[28:29]
	v_add_f64 v[100:101], v[102:103], v[100:101]
	v_fma_f64 v[102:103], s[20:21], v[48:49], v[114:115]
	v_mul_f64 v[116:117], v[22:23], s[16:17]
	v_add_f64 v[82:83], v[102:103], v[82:83]
	v_fma_f64 v[102:103], v[30:31], s[8:9], -v[116:117]
	v_mul_f64 v[118:119], v[20:21], s[16:17]
	v_add_f64 v[86:87], v[122:123], v[86:87]
	v_fma_f64 v[122:123], s[6:7], v[60:61], v[120:121]
	v_add_f64 v[100:101], v[102:103], v[100:101]
	v_fma_f64 v[102:103], s[8:9], v[28:29], v[118:119]
	v_mul_f64 v[120:121], v[66:67], s[14:15]
	v_add_f64 v[94:95], v[122:123], v[94:95]
	v_add_f64 v[82:83], v[102:103], v[82:83]
	v_fma_f64 v[102:103], v[62:63], s[10:11], -v[120:121]
	v_mul_f64 v[122:123], v[64:65], s[14:15]
	v_add_f64 v[100:101], v[102:103], v[100:101]
	v_fma_f64 v[102:103], s[10:11], v[60:61], v[122:123]
	v_fmac_f64_e32 v[104:105], s[2:3], v[42:43]
	v_add_f64 v[102:103], v[102:103], v[82:83]
	v_add_f64 v[70:71], v[104:105], v[70:71]
	v_fma_f64 v[82:83], v[40:41], s[2:3], -v[106:107]
	v_fmac_f64_e32 v[108:109], s[6:7], v[46:47]
	v_add_f64 v[68:69], v[82:83], v[68:69]
	v_add_f64 v[70:71], v[108:109], v[70:71]
	v_fma_f64 v[82:83], v[44:45], s[6:7], -v[110:111]
	v_fmac_f64_e32 v[112:113], s[20:21], v[50:51]
	v_add_f64 v[68:69], v[82:83], v[68:69]
	v_add_f64 v[70:71], v[112:113], v[70:71]
	v_fma_f64 v[82:83], v[48:49], s[20:21], -v[114:115]
	v_fmac_f64_e32 v[116:117], s[8:9], v[30:31]
	v_add_f64 v[68:69], v[82:83], v[68:69]
	v_add_f64 v[70:71], v[116:117], v[70:71]
	v_fma_f64 v[82:83], v[28:29], s[8:9], -v[118:119]
	v_fmac_f64_e32 v[120:121], s[10:11], v[62:63]
	v_add_f64 v[82:83], v[82:83], v[68:69]
	v_add_f64 v[68:69], v[120:121], v[70:71]
	v_fma_f64 v[70:71], v[60:61], s[10:11], -v[122:123]
	v_mul_f64 v[38:39], v[38:39], s[16:17]
	v_add_f64 v[70:71], v[70:71], v[82:83]
	v_fma_f64 v[82:83], v[42:43], s[8:9], -v[38:39]
	v_mul_f64 v[36:37], v[36:37], s[16:17]
	v_add_f64 v[58:59], v[82:83], v[58:59]
	v_fma_f64 v[82:83], s[8:9], v[40:41], v[36:37]
	v_mul_f64 v[34:35], v[34:35], s[18:19]
	v_add_f64 v[56:57], v[82:83], v[56:57]
	v_fma_f64 v[82:83], v[46:47], s[12:13], -v[34:35]
	v_mul_f64 v[32:33], v[32:33], s[18:19]
	v_add_f64 v[58:59], v[82:83], v[58:59]
	v_fma_f64 v[82:83], s[12:13], v[44:45], v[32:33]
	;; [unrolled: 6-line block ×3, first 2 shown]
	v_add_f64 v[56:57], v[82:83], v[56:57]
	v_mul_f64 v[82:83], v[22:23], s[14:15]
	v_fma_f64 v[22:23], v[30:31], s[10:11], -v[82:83]
	v_fmac_f64_e32 v[38:39], s[8:9], v[42:43]
	v_fma_f64 v[36:37], v[40:41], s[8:9], -v[36:37]
	v_add_f64 v[22:23], v[22:23], v[58:59]
	v_mul_f64 v[58:59], v[20:21], s[14:15]
	v_add_f64 v[38:39], v[38:39], v[54:55]
	v_add_f64 v[36:37], v[36:37], v[52:53]
	v_fmac_f64_e32 v[34:35], s[12:13], v[46:47]
	v_fma_f64 v[32:33], v[44:45], s[12:13], -v[32:33]
	v_fma_f64 v[20:21], s[10:11], v[28:29], v[58:59]
	v_mul_f64 v[66:67], v[66:67], s[26:27]
	v_add_f64 v[34:35], v[34:35], v[38:39]
	v_add_f64 v[32:33], v[32:33], v[36:37]
	v_fmac_f64_e32 v[26:27], s[6:7], v[50:51]
	v_fma_f64 v[24:25], v[48:49], s[6:7], -v[24:25]
	v_add_f64 v[56:57], v[20:21], v[56:57]
	v_fma_f64 v[20:21], v[62:63], s[2:3], -v[66:67]
	v_mul_f64 v[64:65], v[64:65], s[26:27]
	v_add_f64 v[26:27], v[26:27], v[34:35]
	v_add_f64 v[24:25], v[24:25], v[32:33]
	v_fmac_f64_e32 v[82:83], s[10:11], v[30:31]
	v_fma_f64 v[28:29], v[28:29], s[10:11], -v[58:59]
	v_add_f64 v[20:21], v[20:21], v[22:23]
	v_fma_f64 v[22:23], s[2:3], v[60:61], v[64:65]
	v_add_f64 v[26:27], v[82:83], v[26:27]
	v_add_f64 v[28:29], v[28:29], v[24:25]
	v_fmac_f64_e32 v[66:67], s[2:3], v[62:63]
	v_fma_f64 v[30:31], v[60:61], s[2:3], -v[64:65]
	s_movk_i32 s2, 0xd0
	v_add_f64 v[22:23], v[22:23], v[56:57]
	v_add_f64 v[24:25], v[66:67], v[26:27]
	;; [unrolled: 1-line block ×3, first 2 shown]
	v_mad_u32_u24 v28, v72, s2, v195
	v_lshl_add_u32 v197, v76, 4, v195
	s_barrier
	ds_write_b128 v28, v[0:3]
	ds_write_b128 v28, v[4:7] offset:16
	ds_write_b128 v28, v[16:19] offset:32
	;; [unrolled: 1-line block ×12, first 2 shown]
	s_waitcnt lgkmcnt(0)
	s_barrier
	ds_read_b128 v[0:3], v194
	ds_read_b128 v[12:15], v73 offset:3536
	ds_read_b128 v[28:31], v73 offset:7072
	;; [unrolled: 1-line block ×3, first 2 shown]
	v_lshl_add_u32 v196, v80, 4, v195
	ds_read_b128 v[20:23], v197
	ds_read_b128 v[36:39], v196
	ds_read_b128 v[40:43], v73 offset:4624
	ds_read_b128 v[16:19], v73 offset:5712
	;; [unrolled: 1-line block ×6, first 2 shown]
	v_cmp_gt_u32_e32 vcc, 17, v72
                                        ; implicit-def: $vgpr54_vgpr55
                                        ; implicit-def: $vgpr58_vgpr59
                                        ; implicit-def: $vgpr62_vgpr63
	s_and_saveexec_b64 s[2:3], vcc
	s_cbranch_execz .LBB0_14
; %bb.13:
	v_lshlrev_b32_e32 v8, 4, v78
	v_add3_u32 v8, 0, v8, v79
	ds_read_b128 v[52:55], v73 offset:6800
	ds_read_b128 v[56:59], v73 offset:10336
	ds_read_b128 v[8:11], v8
	ds_read_b128 v[60:63], v73 offset:13872
.LBB0_14:
	s_or_b64 exec, exec, s[2:3]
	s_movk_i32 s6, 0x4f
	v_mul_lo_u16_sdwa v64, v72, s6 dst_sel:DWORD dst_unused:UNUSED_PAD src0_sel:BYTE_0 src1_sel:DWORD
	v_lshrrev_b16_e32 v65, 10, v64
	v_mul_lo_u16_sdwa v71, v76, s6 dst_sel:DWORD dst_unused:UNUSED_PAD src0_sel:BYTE_0 src1_sel:DWORD
	v_mul_lo_u16_e32 v64, 13, v65
	s_movk_i32 s2, 0x4ec5
	v_mul_lo_u16_sdwa v86, v80, s6 dst_sel:DWORD dst_unused:UNUSED_PAD src0_sel:BYTE_0 src1_sel:DWORD
	v_lshrrev_b16_e32 v148, 10, v71
	v_sub_u16_e32 v81, v72, v64
	v_mov_b32_e32 v64, 3
	v_mul_u32_u24_sdwa v87, v78, s2 dst_sel:DWORD dst_unused:UNUSED_PAD src0_sel:WORD_0 src1_sel:DWORD
	v_lshrrev_b16_e32 v149, 10, v86
	v_mul_lo_u16_e32 v86, 13, v148
	v_mul_u32_u24_sdwa v66, v81, v64 dst_sel:DWORD dst_unused:UNUSED_PAD src0_sel:BYTE_0 src1_sel:DWORD
	v_lshrrev_b32_e32 v71, 18, v87
	v_mul_lo_u16_e32 v87, 13, v149
	v_sub_u16_e32 v150, v76, v86
	v_lshlrev_b32_e32 v70, 4, v66
	v_sub_u16_e32 v151, v80, v87
	v_mul_u32_u24_sdwa v90, v150, v64 dst_sel:DWORD dst_unused:UNUSED_PAD src0_sel:BYTE_0 src1_sel:DWORD
	global_load_dwordx4 v[66:69], v70, s[4:5]
	global_load_dwordx4 v[82:85], v70, s[4:5] offset:16
	global_load_dwordx4 v[86:89], v70, s[4:5] offset:32
	v_lshlrev_b32_e32 v70, 4, v90
	v_mul_u32_u24_sdwa v64, v151, v64 dst_sel:DWORD dst_unused:UNUSED_PAD src0_sel:BYTE_0 src1_sel:DWORD
	global_load_dwordx4 v[90:93], v70, s[4:5]
	global_load_dwordx4 v[94:97], v70, s[4:5] offset:32
	global_load_dwordx4 v[98:101], v70, s[4:5] offset:16
	v_lshlrev_b32_e32 v70, 4, v64
	v_mul_lo_u16_e32 v64, 13, v71
	v_sub_u16_e32 v64, v78, v64
	v_mul_u32_u24_e32 v71, 3, v64
	global_load_dwordx4 v[102:105], v70, s[4:5] offset:16
	global_load_dwordx4 v[106:109], v70, s[4:5]
	global_load_dwordx4 v[110:113], v70, s[4:5] offset:32
	v_lshlrev_b32_e32 v70, 4, v71
	global_load_dwordx4 v[114:117], v70, s[4:5]
	global_load_dwordx4 v[118:121], v70, s[4:5] offset:16
	global_load_dwordx4 v[122:125], v70, s[4:5] offset:32
	s_movk_i32 s7, 0x340
	v_mad_u32_u24 v65, v65, s7, 0
	s_waitcnt lgkmcnt(0)
	s_barrier
	s_waitcnt vmcnt(11)
	v_mul_f64 v[70:71], v[14:15], v[68:69]
	v_mul_f64 v[68:69], v[12:13], v[68:69]
	s_waitcnt vmcnt(9)
	v_mul_f64 v[128:129], v[50:51], v[88:89]
	v_mul_f64 v[88:89], v[48:49], v[88:89]
	;; [unrolled: 1-line block ×4, first 2 shown]
	s_waitcnt vmcnt(8)
	v_mul_f64 v[130:131], v[42:43], v[92:93]
	v_mul_f64 v[92:93], v[40:41], v[92:93]
	s_waitcnt vmcnt(6)
	v_mul_f64 v[132:133], v[6:7], v[100:101]
	v_mul_f64 v[100:101], v[4:5], v[100:101]
	;; [unrolled: 1-line block ×3, first 2 shown]
	s_waitcnt vmcnt(4)
	v_mul_f64 v[136:137], v[18:19], v[108:109]
	s_waitcnt vmcnt(2)
	v_mul_f64 v[142:143], v[54:55], v[116:117]
	v_mul_f64 v[116:117], v[52:53], v[116:117]
	s_waitcnt vmcnt(1)
	v_mul_f64 v[144:145], v[58:59], v[120:121]
	;; [unrolled: 3-line block ×3, first 2 shown]
	v_mul_f64 v[124:125], v[60:61], v[124:125]
	v_fmac_f64_e32 v[68:69], v[14:15], v[66:67]
	v_fmac_f64_e32 v[88:89], v[50:51], v[86:87]
	v_mul_f64 v[96:97], v[44:45], v[96:97]
	v_mul_f64 v[108:109], v[16:17], v[108:109]
	;; [unrolled: 1-line block ×6, first 2 shown]
	v_fma_f64 v[12:13], v[12:13], v[66:67], -v[70:71]
	v_fma_f64 v[14:15], v[28:29], v[82:83], -v[126:127]
	v_fmac_f64_e32 v[84:85], v[30:31], v[82:83]
	v_fma_f64 v[28:29], v[48:49], v[86:87], -v[128:129]
	v_fma_f64 v[30:31], v[40:41], v[90:91], -v[130:131]
	v_fmac_f64_e32 v[92:93], v[42:43], v[90:91]
	v_fma_f64 v[40:41], v[4:5], v[98:99], -v[132:133]
	v_fmac_f64_e32 v[100:101], v[6:7], v[98:99]
	v_fma_f64 v[42:43], v[44:45], v[94:95], -v[134:135]
	v_fma_f64 v[44:45], v[16:17], v[106:107], -v[136:137]
	v_fmac_f64_e32 v[116:117], v[54:55], v[114:115]
	v_fmac_f64_e32 v[120:121], v[58:59], v[118:119]
	;; [unrolled: 1-line block ×3, first 2 shown]
	v_add_f64 v[16:17], v[68:69], -v[88:89]
	v_fmac_f64_e32 v[96:97], v[46:47], v[94:95]
	v_fmac_f64_e32 v[108:109], v[18:19], v[106:107]
	v_fma_f64 v[46:47], v[24:25], v[102:103], -v[138:139]
	v_fmac_f64_e32 v[104:105], v[26:27], v[102:103]
	v_fma_f64 v[48:49], v[32:33], v[110:111], -v[140:141]
	;; [unrolled: 2-line block ×3, first 2 shown]
	v_add_f64 v[4:5], v[0:1], -v[14:15]
	v_add_f64 v[18:19], v[12:13], -v[28:29]
	v_fma_f64 v[14:15], v[68:69], 2.0, -v[16:17]
	v_add_f64 v[28:29], v[20:21], -v[40:41]
	v_add_f64 v[40:41], v[22:23], -v[100:101]
	;; [unrolled: 1-line block ×5, first 2 shown]
	v_fma_f64 v[52:53], v[52:53], v[114:115], -v[142:143]
	v_fma_f64 v[56:57], v[60:61], v[122:123], -v[146:147]
	v_fma_f64 v[24:25], v[30:31], 2.0, -v[34:35]
	v_add_f64 v[34:35], v[40:41], v[34:35]
	v_add_f64 v[46:47], v[36:37], -v[46:47]
	v_add_f64 v[58:59], v[38:39], -v[104:105]
	;; [unrolled: 1-line block ×5, first 2 shown]
	v_fma_f64 v[10:11], v[10:11], 2.0, -v[62:63]
	v_fma_f64 v[54:55], v[116:117], 2.0, -v[68:69]
	v_add_f64 v[6:7], v[2:3], -v[84:85]
	v_fma_f64 v[22:23], v[22:23], 2.0, -v[40:41]
	v_fma_f64 v[30:31], v[40:41], 2.0, -v[34:35]
	;; [unrolled: 1-line block ×4, first 2 shown]
	v_add_f64 v[48:49], v[46:47], -v[48:49]
	v_add_f64 v[50:51], v[58:59], v[50:51]
	v_add_f64 v[66:67], v[52:53], -v[56:57]
	v_add_f64 v[54:55], v[10:11], -v[54:55]
	v_fma_f64 v[0:1], v[0:1], 2.0, -v[4:5]
	v_fma_f64 v[2:3], v[2:3], 2.0, -v[6:7]
	;; [unrolled: 1-line block ×9, first 2 shown]
	v_add_f64 v[10:11], v[62:63], v[66:67]
	v_mov_b32_e32 v66, 4
	v_add_f64 v[12:13], v[0:1], -v[12:13]
	v_add_f64 v[14:15], v[2:3], -v[14:15]
	;; [unrolled: 1-line block ×3, first 2 shown]
	v_lshlrev_b32_sdwa v67, v66, v81 dst_sel:DWORD dst_unused:UNUSED_PAD src0_sel:DWORD src1_sel:BYTE_0
	v_fma_f64 v[0:1], v[0:1], 2.0, -v[12:13]
	v_fma_f64 v[2:3], v[2:3], 2.0, -v[14:15]
	v_add_f64 v[16:17], v[4:5], -v[16:17]
	v_add_f64 v[18:19], v[6:7], v[18:19]
	v_fma_f64 v[20:21], v[20:21], 2.0, -v[28:29]
	v_fma_f64 v[26:27], v[92:93], 2.0, -v[32:33]
	v_add3_u32 v65, v65, v67, v79
	v_fma_f64 v[4:5], v[4:5], 2.0, -v[16:17]
	v_fma_f64 v[6:7], v[6:7], 2.0, -v[18:19]
	v_add_f64 v[24:25], v[20:21], -v[24:25]
	v_add_f64 v[26:27], v[22:23], -v[26:27]
	v_fma_f64 v[8:9], v[8:9], 2.0, -v[60:61]
	ds_write_b128 v65, v[0:3]
	ds_write_b128 v65, v[4:7] offset:208
	ds_write_b128 v65, v[12:15] offset:416
	;; [unrolled: 1-line block ×3, first 2 shown]
	v_mad_u32_u24 v65, v148, s7, 0
	v_lshlrev_b32_sdwa v67, v66, v150 dst_sel:DWORD dst_unused:UNUSED_PAD src0_sel:DWORD src1_sel:BYTE_0
	v_fma_f64 v[20:21], v[20:21], 2.0, -v[24:25]
	v_fma_f64 v[22:23], v[22:23], 2.0, -v[26:27]
	v_add_f64 v[32:33], v[28:29], -v[32:33]
	v_add_f64 v[52:53], v[8:9], -v[52:53]
	v_add3_u32 v65, v65, v67, v79
	v_fma_f64 v[28:29], v[28:29], 2.0, -v[32:33]
	v_add_f64 v[40:41], v[36:37], -v[40:41]
	v_add_f64 v[42:43], v[38:39], -v[42:43]
	v_fma_f64 v[56:57], v[8:9], 2.0, -v[52:53]
	v_add_f64 v[8:9], v[60:61], -v[68:69]
	ds_write_b128 v65, v[20:23]
	ds_write_b128 v65, v[28:31] offset:208
	ds_write_b128 v65, v[24:27] offset:416
	;; [unrolled: 1-line block ×3, first 2 shown]
	v_mad_u32_u24 v65, v149, s7, 0
	v_lshlrev_b32_sdwa v66, v66, v151 dst_sel:DWORD dst_unused:UNUSED_PAD src0_sel:DWORD src1_sel:BYTE_0
	v_fma_f64 v[36:37], v[36:37], 2.0, -v[40:41]
	v_fma_f64 v[38:39], v[38:39], 2.0, -v[42:43]
	;; [unrolled: 1-line block ×4, first 2 shown]
	v_add3_u32 v65, v65, v66, v79
	ds_write_b128 v65, v[36:39]
	ds_write_b128 v65, v[44:47] offset:208
	ds_write_b128 v65, v[40:43] offset:416
	ds_write_b128 v65, v[48:51] offset:624
	s_and_saveexec_b64 s[2:3], vcc
	s_cbranch_execz .LBB0_16
; %bb.15:
	v_mul_lo_u16_sdwa v65, v78, s6 dst_sel:DWORD dst_unused:UNUSED_PAD src0_sel:BYTE_0 src1_sel:DWORD
	v_lshrrev_b16_e32 v65, 10, v65
	v_mad_u32_u24 v65, v65, s7, 0
	v_lshlrev_b32_e32 v64, 4, v64
	v_add3_u32 v64, v65, v64, v79
	ds_write_b128 v64, v[56:59]
	ds_write_b128 v64, v[60:63] offset:208
	ds_write_b128 v64, v[52:55] offset:416
	;; [unrolled: 1-line block ×3, first 2 shown]
.LBB0_16:
	s_or_b64 exec, exec, s[2:3]
	v_cmp_gt_u32_e32 vcc, 52, v72
	s_waitcnt lgkmcnt(0)
	s_barrier
	s_waitcnt lgkmcnt(0)
                                        ; implicit-def: $vgpr66_vgpr67
	s_and_saveexec_b64 s[2:3], vcc
	s_cbranch_execz .LBB0_18
; %bb.17:
	ds_read_b128 v[0:3], v194
	ds_read_b128 v[4:7], v73 offset:832
	ds_read_b128 v[12:15], v73 offset:1664
	;; [unrolled: 1-line block ×16, first 2 shown]
.LBB0_18:
	s_or_b64 exec, exec, s[2:3]
	s_waitcnt lgkmcnt(0)
	s_barrier
	s_and_saveexec_b64 s[2:3], vcc
	s_cbranch_execz .LBB0_20
; %bb.19:
	v_add_u32_e32 v68, 0xfffffcc0, v77
	v_cndmask_b32_e32 v68, v68, v77, vcc
	v_mov_b32_e32 v69, 0
	v_lshl_add_u64 v[82:83], v[68:69], 4, s[4:5]
	global_load_dwordx4 v[68:71], v[82:83], off offset:736
	global_load_dwordx4 v[100:103], v[82:83], off offset:752
	;; [unrolled: 1-line block ×16, first 2 shown]
	s_mov_b32 s26, 0x7faef3
	s_mov_b32 s24, 0x370991
	;; [unrolled: 1-line block ×48, first 2 shown]
	s_waitcnt vmcnt(15)
	v_mul_f64 v[82:83], v[36:37], v[70:71]
	v_mul_f64 v[142:143], v[38:39], v[70:71]
	s_waitcnt vmcnt(14)
	v_mul_f64 v[70:71], v[44:45], v[102:103]
	v_mul_f64 v[102:103], v[46:47], v[102:103]
	;; [unrolled: 3-line block ×3, first 2 shown]
	s_waitcnt vmcnt(9)
	v_mul_f64 v[94:95], v[28:29], v[124:125]
	s_waitcnt vmcnt(8)
	v_mul_f64 v[92:93], v[56:57], v[128:129]
	v_mul_f64 v[128:129], v[58:59], v[128:129]
	s_waitcnt vmcnt(6)
	v_mul_f64 v[96:97], v[60:61], v[136:137]
	;; [unrolled: 3-line block ×3, first 2 shown]
	v_mul_f64 v[140:141], v[18:19], v[140:141]
	v_fmac_f64_e32 v[92:93], v[58:59], v[126:127]
	v_fma_f64 v[58:59], v[60:61], v[134:135], -v[136:137]
	s_waitcnt vmcnt(0)
	v_mul_f64 v[136:137], v[4:5], v[170:171]
	v_mul_f64 v[124:125], v[30:31], v[124:125]
	v_fmac_f64_e32 v[108:109], v[18:19], v[138:139]
	v_fma_f64 v[60:61], v[16:17], v[138:139], -v[140:141]
	v_fmac_f64_e32 v[136:137], v[6:7], v[168:169]
	v_mul_f64 v[6:7], v[6:7], v[170:171]
	v_mul_f64 v[138:139], v[64:65], v[166:167]
	;; [unrolled: 1-line block ×4, first 2 shown]
	v_fmac_f64_e32 v[70:71], v[46:47], v[100:101]
	v_fma_f64 v[100:101], v[44:45], v[100:101], -v[102:103]
	v_fma_f64 v[102:103], v[40:41], v[110:111], -v[112:113]
	v_fmac_f64_e32 v[94:95], v[30:31], v[122:123]
	v_fma_f64 v[112:113], v[28:29], v[122:123], -v[124:125]
	v_fmac_f64_e32 v[96:97], v[62:63], v[134:135]
	v_mul_f64 v[122:123], v[12:13], v[158:159]
	v_mul_f64 v[124:125], v[8:9], v[162:163]
	v_fma_f64 v[134:135], v[4:5], v[168:169], -v[6:7]
	v_fmac_f64_e32 v[138:139], v[66:67], v[164:165]
	v_mul_f64 v[6:7], v[66:67], v[166:167]
	v_mul_f64 v[86:87], v[32:33], v[106:107]
	v_mul_f64 v[106:107], v[34:35], v[106:107]
	v_mul_f64 v[88:89], v[48:49], v[120:121]
	v_mul_f64 v[120:121], v[50:51], v[120:121]
	v_fmac_f64_e32 v[84:85], v[42:43], v[110:111]
	v_fma_f64 v[110:111], v[24:25], v[114:115], -v[116:117]
	v_mul_f64 v[116:117], v[52:53], v[154:155]
	v_fmac_f64_e32 v[122:123], v[14:15], v[156:157]
	v_mul_f64 v[14:15], v[14:15], v[158:159]
	v_fmac_f64_e32 v[124:125], v[10:11], v[160:161]
	v_mul_f64 v[10:11], v[10:11], v[162:163]
	v_fma_f64 v[64:65], v[64:65], v[164:165], -v[6:7]
	v_add_f64 v[164:165], v[136:137], v[138:139]
	v_mul_f64 v[98:99], v[20:21], v[132:133]
	v_fmac_f64_e32 v[86:87], v[34:35], v[104:105]
	v_fma_f64 v[104:105], v[32:33], v[104:105], -v[106:107]
	v_fmac_f64_e32 v[88:89], v[50:51], v[118:119]
	v_fma_f64 v[106:107], v[48:49], v[118:119], -v[120:121]
	v_fmac_f64_e32 v[116:117], v[54:55], v[152:153]
	v_mul_f64 v[30:31], v[54:55], v[154:155]
	v_fma_f64 v[120:121], v[12:13], v[156:157], -v[14:15]
	v_fma_f64 v[118:119], v[8:9], v[160:161], -v[10:11]
	v_add_f64 v[154:155], v[122:123], v[124:125]
	v_mul_f64 v[10:11], v[164:165], s[26:27]
	v_add_f64 v[66:67], v[134:135], -v[64:65]
	v_mul_f64 v[132:133], v[22:23], v[132:133]
	v_fmac_f64_e32 v[90:91], v[26:27], v[114:115]
	v_fmac_f64_e32 v[98:99], v[22:23], v[130:131]
	v_fma_f64 v[114:115], v[52:53], v[152:153], -v[30:31]
	v_add_f64 v[152:153], v[108:109], v[116:117]
	v_mul_f64 v[8:9], v[154:155], s[24:25]
	v_add_f64 v[148:149], v[120:121], -v[118:119]
	v_fma_f64 v[6:7], s[34:35], v[66:67], v[10:11]
	v_fma_f64 v[62:63], v[20:21], v[130:131], -v[132:133]
	v_add_f64 v[150:151], v[98:99], v[96:97]
	v_mul_f64 v[12:13], v[152:153], s[20:21]
	v_add_f64 v[140:141], v[60:61], -v[114:115]
	v_fma_f64 v[4:5], s[28:29], v[148:149], v[8:9]
	v_add_f64 v[6:7], v[2:3], v[6:7]
	v_fma_f64 v[56:57], v[56:57], v[126:127], -v[128:129]
	v_add_f64 v[146:147], v[94:95], v[92:93]
	v_mul_f64 v[28:29], v[150:151], s[18:19]
	v_add_f64 v[132:133], v[62:63], -v[58:59]
	v_add_f64 v[4:5], v[4:5], v[6:7]
	v_fma_f64 v[6:7], s[30:31], v[140:141], v[12:13]
	v_add_f64 v[144:145], v[90:91], v[88:89]
	v_add_f64 v[130:131], v[112:113], -v[56:57]
	v_mul_f64 v[20:21], v[146:147], s[10:11]
	v_add_f64 v[4:5], v[6:7], v[4:5]
	v_fma_f64 v[6:7], s[22:23], v[132:133], v[28:29]
	v_fmac_f64_e32 v[82:83], v[38:39], v[68:69]
	v_fma_f64 v[68:69], v[36:37], v[68:69], -v[142:143]
	v_add_f64 v[142:143], v[86:87], v[84:85]
	v_add_f64 v[128:129], v[110:111], -v[106:107]
	v_mul_f64 v[18:19], v[144:145], s[8:9]
	v_fma_f64 v[26:27], s[16:17], v[130:131], v[20:21]
	v_add_f64 v[4:5], v[6:7], v[4:5]
	v_add_f64 v[126:127], v[104:105], -v[102:103]
	v_mul_f64 v[16:17], v[142:143], s[6:7]
	v_fma_f64 v[24:25], s[12:13], v[128:129], v[18:19]
	v_add_f64 v[4:5], v[26:27], v[4:5]
	v_add_f64 v[172:173], v[136:137], -v[138:139]
	v_fma_f64 v[22:23], s[14:15], v[126:127], v[16:17]
	v_add_f64 v[4:5], v[24:25], v[4:5]
	v_add_f64 v[156:157], v[134:135], v[64:65]
	v_mul_f64 v[14:15], v[172:173], s[36:37]
	v_add_f64 v[178:179], v[122:123], -v[124:125]
	v_add_f64 v[4:5], v[22:23], v[4:5]
	v_fma_f64 v[6:7], s[26:27], v[156:157], v[14:15]
	v_add_f64 v[158:159], v[120:121], v[118:119]
	v_mul_f64 v[22:23], v[178:179], s[48:49]
	v_add_f64 v[6:7], v[0:1], v[6:7]
	v_fma_f64 v[24:25], s[24:25], v[158:159], v[22:23]
	v_add_f64 v[176:177], v[108:109], -v[116:117]
	v_add_f64 v[6:7], v[24:25], v[6:7]
	v_add_f64 v[160:161], v[60:61], v[114:115]
	v_mul_f64 v[24:25], v[176:177], s[38:39]
	v_fma_f64 v[26:27], s[20:21], v[160:161], v[24:25]
	v_add_f64 v[180:181], v[98:99], -v[96:97]
	v_fmac_f64_e32 v[10:11], s[36:37], v[66:67]
	v_add_f64 v[6:7], v[26:27], v[6:7]
	v_add_f64 v[162:163], v[62:63], v[58:59]
	v_mul_f64 v[26:27], v[180:181], s[50:51]
	v_fmac_f64_e32 v[8:9], s[48:49], v[148:149]
	v_add_f64 v[10:11], v[2:3], v[10:11]
	v_fma_f64 v[30:31], s[18:19], v[162:163], v[26:27]
	v_add_f64 v[182:183], v[94:95], -v[92:93]
	v_add_f64 v[8:9], v[8:9], v[10:11]
	v_fmac_f64_e32 v[12:13], s[38:39], v[140:141]
	v_add_f64 v[6:7], v[30:31], v[6:7]
	v_add_f64 v[166:167], v[112:113], v[56:57]
	v_mul_f64 v[30:31], v[182:183], s[42:43]
	v_add_f64 v[8:9], v[12:13], v[8:9]
	v_fma_f64 v[12:13], v[156:157], s[26:27], -v[14:15]
	v_fma_f64 v[32:33], s[10:11], v[166:167], v[30:31]
	v_add_f64 v[186:187], v[90:91], -v[88:89]
	v_fma_f64 v[10:11], v[158:159], s[24:25], -v[22:23]
	v_add_f64 v[12:13], v[0:1], v[12:13]
	v_add_f64 v[6:7], v[32:33], v[6:7]
	;; [unrolled: 1-line block ×3, first 2 shown]
	v_mul_f64 v[32:33], v[186:187], s[52:53]
	v_fmac_f64_e32 v[28:29], s[50:51], v[132:133]
	v_add_f64 v[10:11], v[10:11], v[12:13]
	v_fma_f64 v[12:13], v[160:161], s[20:21], -v[24:25]
	v_fma_f64 v[34:35], s[8:9], v[168:169], v[32:33]
	v_add_f64 v[188:189], v[86:87], -v[84:85]
	v_add_f64 v[8:9], v[28:29], v[8:9]
	v_fmac_f64_e32 v[20:21], s[42:43], v[130:131]
	v_add_f64 v[10:11], v[12:13], v[10:11]
	v_fma_f64 v[12:13], v[162:163], s[18:19], -v[26:27]
	v_add_f64 v[6:7], v[34:35], v[6:7]
	v_add_f64 v[170:171], v[104:105], v[102:103]
	v_mul_f64 v[34:35], v[188:189], s[44:45]
	v_add_f64 v[190:191], v[82:83], v[70:71]
	v_add_f64 v[8:9], v[20:21], v[8:9]
	v_fmac_f64_e32 v[18:19], s[52:53], v[128:129]
	v_add_f64 v[10:11], v[12:13], v[10:11]
	v_fma_f64 v[12:13], v[166:167], s[10:11], -v[30:31]
	v_fma_f64 v[36:37], s[6:7], v[170:171], v[34:35]
	v_mul_f64 v[38:39], v[190:191], s[40:41]
	v_add_f64 v[184:185], v[68:69], -v[100:101]
	v_add_f64 v[192:193], v[82:83], -v[70:71]
	v_add_f64 v[8:9], v[18:19], v[8:9]
	v_fmac_f64_e32 v[16:17], s[44:45], v[126:127]
	v_add_f64 v[10:11], v[12:13], v[10:11]
	v_fma_f64 v[12:13], v[168:169], s[8:9], -v[32:33]
	v_add_f64 v[36:37], v[36:37], v[6:7]
	v_fma_f64 v[6:7], s[46:47], v[184:185], v[38:39]
	v_add_f64 v[174:175], v[68:69], v[100:101]
	v_mul_f64 v[40:41], v[192:193], s[54:55]
	v_add_f64 v[8:9], v[16:17], v[8:9]
	v_add_f64 v[10:11], v[12:13], v[10:11]
	v_fma_f64 v[12:13], v[170:171], s[6:7], -v[34:35]
	v_fmac_f64_e32 v[38:39], s[54:55], v[184:185]
	v_add_f64 v[12:13], v[12:13], v[10:11]
	v_add_f64 v[10:11], v[38:39], v[8:9]
	v_fma_f64 v[8:9], v[174:175], s[40:41], -v[40:41]
	v_mul_f64 v[16:17], v[164:165], s[20:21]
	v_add_f64 v[8:9], v[8:9], v[12:13]
	v_fma_f64 v[12:13], s[30:31], v[66:67], v[16:17]
	v_mul_f64 v[18:19], v[154:155], s[8:9]
	v_add_f64 v[12:13], v[2:3], v[12:13]
	v_fma_f64 v[14:15], s[12:13], v[148:149], v[18:19]
	;; [unrolled: 3-line block ×9, first 2 shown]
	v_add_f64 v[6:7], v[6:7], v[4:5]
	v_fma_f64 v[4:5], s[40:41], v[174:175], v[40:41]
	v_add_f64 v[14:15], v[34:35], v[14:15]
	v_mul_f64 v[34:35], v[176:177], s[46:47]
	v_add_f64 v[4:5], v[4:5], v[36:37]
	v_fma_f64 v[36:37], s[40:41], v[160:161], v[34:35]
	v_fmac_f64_e32 v[16:17], s[38:39], v[66:67]
	v_add_f64 v[14:15], v[36:37], v[14:15]
	v_mul_f64 v[36:37], v[180:181], s[16:17]
	v_fmac_f64_e32 v[18:19], s[52:53], v[148:149]
	v_add_f64 v[16:17], v[2:3], v[16:17]
	v_fma_f64 v[38:39], s[10:11], v[162:163], v[36:37]
	v_add_f64 v[16:17], v[18:19], v[16:17]
	v_fmac_f64_e32 v[20:21], s[46:47], v[140:141]
	v_add_f64 v[14:15], v[38:39], v[14:15]
	v_mul_f64 v[38:39], v[182:183], s[28:29]
	v_add_f64 v[16:17], v[20:21], v[16:17]
	v_fma_f64 v[20:21], v[156:157], s[20:21], -v[30:31]
	v_fma_f64 v[40:41], s[24:25], v[166:167], v[38:39]
	v_fma_f64 v[18:19], v[158:159], s[8:9], -v[32:33]
	v_add_f64 v[20:21], v[0:1], v[20:21]
	v_add_f64 v[14:15], v[40:41], v[14:15]
	v_mul_f64 v[40:41], v[186:187], s[36:37]
	v_fmac_f64_e32 v[22:23], s[16:17], v[132:133]
	v_add_f64 v[18:19], v[18:19], v[20:21]
	v_fma_f64 v[20:21], v[160:161], s[40:41], -v[34:35]
	v_fma_f64 v[42:43], s[26:27], v[168:169], v[40:41]
	v_add_f64 v[16:17], v[22:23], v[16:17]
	v_fmac_f64_e32 v[24:25], s[28:29], v[130:131]
	v_add_f64 v[18:19], v[20:21], v[18:19]
	v_fma_f64 v[20:21], v[162:163], s[10:11], -v[36:37]
	v_add_f64 v[14:15], v[42:43], v[14:15]
	v_mul_f64 v[42:43], v[188:189], s[50:51]
	v_add_f64 v[16:17], v[24:25], v[16:17]
	v_fmac_f64_e32 v[26:27], s[36:37], v[128:129]
	v_add_f64 v[18:19], v[20:21], v[18:19]
	v_fma_f64 v[20:21], v[166:167], s[24:25], -v[38:39]
	v_fma_f64 v[44:45], s[18:19], v[170:171], v[42:43]
	v_mul_f64 v[46:47], v[190:191], s[6:7]
	v_add_f64 v[16:17], v[26:27], v[16:17]
	v_fmac_f64_e32 v[28:29], s[50:51], v[126:127]
	v_add_f64 v[18:19], v[20:21], v[18:19]
	v_fma_f64 v[20:21], v[168:169], s[26:27], -v[40:41]
	v_add_f64 v[44:45], v[44:45], v[14:15]
	v_fma_f64 v[14:15], s[14:15], v[184:185], v[46:47]
	v_mul_f64 v[48:49], v[192:193], s[44:45]
	v_add_f64 v[16:17], v[28:29], v[16:17]
	v_add_f64 v[18:19], v[20:21], v[18:19]
	v_fma_f64 v[20:21], v[170:171], s[18:19], -v[42:43]
	v_fmac_f64_e32 v[46:47], s[44:45], v[184:185]
	v_add_f64 v[20:21], v[20:21], v[18:19]
	v_add_f64 v[18:19], v[46:47], v[16:17]
	v_fma_f64 v[16:17], v[174:175], s[6:7], -v[48:49]
	v_mul_f64 v[24:25], v[164:165], s[10:11]
	v_add_f64 v[16:17], v[16:17], v[20:21]
	v_fma_f64 v[20:21], s[16:17], v[66:67], v[24:25]
	v_mul_f64 v[26:27], v[154:155], s[6:7]
	v_add_f64 v[20:21], v[2:3], v[20:21]
	v_fma_f64 v[22:23], s[44:45], v[148:149], v[26:27]
	;; [unrolled: 3-line block ×9, first 2 shown]
	v_add_f64 v[14:15], v[14:15], v[12:13]
	v_fma_f64 v[12:13], s[6:7], v[174:175], v[48:49]
	v_add_f64 v[22:23], v[42:43], v[22:23]
	v_mul_f64 v[42:43], v[176:177], s[28:29]
	v_add_f64 v[12:13], v[12:13], v[44:45]
	v_fma_f64 v[44:45], s[24:25], v[160:161], v[42:43]
	v_fmac_f64_e32 v[24:25], s[42:43], v[66:67]
	v_add_f64 v[22:23], v[44:45], v[22:23]
	v_mul_f64 v[44:45], v[180:181], s[38:39]
	v_fmac_f64_e32 v[26:27], s[14:15], v[148:149]
	v_add_f64 v[24:25], v[2:3], v[24:25]
	v_fma_f64 v[46:47], s[20:21], v[162:163], v[44:45]
	v_add_f64 v[24:25], v[26:27], v[24:25]
	v_fmac_f64_e32 v[28:29], s[28:29], v[140:141]
	v_add_f64 v[22:23], v[46:47], v[22:23]
	v_mul_f64 v[46:47], v[182:183], s[54:55]
	v_add_f64 v[24:25], v[28:29], v[24:25]
	v_fma_f64 v[28:29], v[156:157], s[10:11], -v[38:39]
	v_fma_f64 v[48:49], s[40:41], v[166:167], v[46:47]
	v_fma_f64 v[26:27], v[158:159], s[6:7], -v[40:41]
	v_add_f64 v[28:29], v[0:1], v[28:29]
	v_add_f64 v[22:23], v[48:49], v[22:23]
	v_mul_f64 v[48:49], v[186:187], s[22:23]
	v_fmac_f64_e32 v[30:31], s[38:39], v[132:133]
	v_add_f64 v[26:27], v[26:27], v[28:29]
	v_fma_f64 v[28:29], v[160:161], s[24:25], -v[42:43]
	v_fma_f64 v[50:51], s[18:19], v[168:169], v[48:49]
	v_add_f64 v[24:25], v[30:31], v[24:25]
	v_fmac_f64_e32 v[32:33], s[54:55], v[130:131]
	v_add_f64 v[26:27], v[28:29], v[26:27]
	v_fma_f64 v[28:29], v[162:163], s[20:21], -v[44:45]
	v_add_f64 v[22:23], v[50:51], v[22:23]
	v_mul_f64 v[50:51], v[188:189], s[36:37]
	v_add_f64 v[24:25], v[32:33], v[24:25]
	v_fmac_f64_e32 v[34:35], s[22:23], v[128:129]
	v_add_f64 v[26:27], v[28:29], v[26:27]
	v_fma_f64 v[28:29], v[166:167], s[40:41], -v[46:47]
	v_fma_f64 v[52:53], s[26:27], v[170:171], v[50:51]
	v_mul_f64 v[54:55], v[190:191], s[8:9]
	v_add_f64 v[24:25], v[34:35], v[24:25]
	v_fmac_f64_e32 v[36:37], s[36:37], v[126:127]
	v_add_f64 v[26:27], v[28:29], v[26:27]
	v_fma_f64 v[28:29], v[168:169], s[18:19], -v[48:49]
	v_add_f64 v[52:53], v[52:53], v[22:23]
	v_fma_f64 v[22:23], s[12:13], v[184:185], v[54:55]
	v_mul_f64 v[198:199], v[192:193], s[52:53]
	v_add_f64 v[24:25], v[36:37], v[24:25]
	v_add_f64 v[26:27], v[28:29], v[26:27]
	v_fma_f64 v[28:29], v[170:171], s[26:27], -v[50:51]
	v_fmac_f64_e32 v[54:55], s[52:53], v[184:185]
	v_add_f64 v[28:29], v[28:29], v[26:27]
	v_add_f64 v[26:27], v[54:55], v[24:25]
	v_fma_f64 v[24:25], v[174:175], s[8:9], -v[198:199]
	v_mul_f64 v[32:33], v[164:165], s[6:7]
	v_add_f64 v[24:25], v[24:25], v[28:29]
	v_fma_f64 v[28:29], s[14:15], v[66:67], v[32:33]
	v_mul_f64 v[34:35], v[154:155], s[20:21]
	v_add_f64 v[28:29], v[2:3], v[28:29]
	v_fma_f64 v[30:31], s[38:39], v[148:149], v[34:35]
	;; [unrolled: 3-line block ×9, first 2 shown]
	v_add_f64 v[22:23], v[22:23], v[20:21]
	v_fma_f64 v[20:21], s[8:9], v[174:175], v[198:199]
	v_add_f64 v[30:31], v[50:51], v[30:31]
	v_mul_f64 v[50:51], v[176:177], s[50:51]
	v_add_f64 v[20:21], v[20:21], v[52:53]
	v_fma_f64 v[52:53], s[18:19], v[160:161], v[50:51]
	v_fmac_f64_e32 v[32:33], s[44:45], v[66:67]
	v_add_f64 v[30:31], v[52:53], v[30:31]
	v_mul_f64 v[52:53], v[180:181], s[12:13]
	v_fmac_f64_e32 v[34:35], s[30:31], v[148:149]
	v_add_f64 v[32:33], v[2:3], v[32:33]
	v_fma_f64 v[54:55], s[8:9], v[162:163], v[52:53]
	v_add_f64 v[32:33], v[34:35], v[32:33]
	v_fmac_f64_e32 v[36:37], s[50:51], v[140:141]
	v_add_f64 v[30:31], v[54:55], v[30:31]
	v_mul_f64 v[54:55], v[182:183], s[36:37]
	v_add_f64 v[32:33], v[36:37], v[32:33]
	v_fma_f64 v[36:37], v[156:157], s[6:7], -v[46:47]
	v_fma_f64 v[198:199], s[26:27], v[166:167], v[54:55]
	v_fma_f64 v[34:35], v[158:159], s[20:21], -v[48:49]
	v_add_f64 v[36:37], v[0:1], v[36:37]
	v_add_f64 v[30:31], v[198:199], v[30:31]
	v_mul_f64 v[198:199], v[186:187], s[54:55]
	v_fmac_f64_e32 v[38:39], s[12:13], v[132:133]
	v_add_f64 v[34:35], v[34:35], v[36:37]
	v_fma_f64 v[36:37], v[160:161], s[18:19], -v[50:51]
	v_fma_f64 v[200:201], s[40:41], v[168:169], v[198:199]
	v_add_f64 v[32:33], v[38:39], v[32:33]
	v_fmac_f64_e32 v[40:41], s[36:37], v[130:131]
	v_add_f64 v[34:35], v[36:37], v[34:35]
	v_fma_f64 v[36:37], v[162:163], s[8:9], -v[52:53]
	v_add_f64 v[30:31], v[200:201], v[30:31]
	v_mul_f64 v[200:201], v[188:189], s[28:29]
	v_add_f64 v[32:33], v[40:41], v[32:33]
	v_fmac_f64_e32 v[42:43], s[54:55], v[128:129]
	v_add_f64 v[34:35], v[36:37], v[34:35]
	v_fma_f64 v[36:37], v[166:167], s[26:27], -v[54:55]
	v_fma_f64 v[202:203], s[24:25], v[170:171], v[200:201]
	v_mul_f64 v[204:205], v[190:191], s[10:11]
	v_add_f64 v[32:33], v[42:43], v[32:33]
	v_fmac_f64_e32 v[44:45], s[28:29], v[126:127]
	v_add_f64 v[34:35], v[36:37], v[34:35]
	v_fma_f64 v[36:37], v[168:169], s[40:41], -v[198:199]
	v_add_f64 v[202:203], v[202:203], v[30:31]
	v_fma_f64 v[30:31], s[16:17], v[184:185], v[204:205]
	v_mul_f64 v[206:207], v[192:193], s[42:43]
	v_add_f64 v[32:33], v[44:45], v[32:33]
	v_add_f64 v[34:35], v[36:37], v[34:35]
	v_fma_f64 v[36:37], v[170:171], s[24:25], -v[200:201]
	v_fmac_f64_e32 v[204:205], s[42:43], v[184:185]
	v_add_f64 v[36:37], v[36:37], v[34:35]
	v_add_f64 v[34:35], v[204:205], v[32:33]
	v_fma_f64 v[32:33], v[174:175], s[10:11], -v[206:207]
	v_mul_f64 v[40:41], v[164:165], s[40:41]
	v_add_f64 v[32:33], v[32:33], v[36:37]
	v_fma_f64 v[36:37], s[54:55], v[66:67], v[40:41]
	v_mul_f64 v[42:43], v[154:155], s[26:27]
	v_add_f64 v[36:37], v[2:3], v[36:37]
	v_fma_f64 v[38:39], s[34:35], v[148:149], v[42:43]
	;; [unrolled: 3-line block ×9, first 2 shown]
	v_add_f64 v[30:31], v[30:31], v[28:29]
	v_fma_f64 v[28:29], s[10:11], v[174:175], v[206:207]
	v_add_f64 v[38:39], v[200:201], v[38:39]
	v_mul_f64 v[200:201], v[176:177], s[14:15]
	v_add_f64 v[28:29], v[28:29], v[202:203]
	v_fma_f64 v[202:203], s[6:7], v[160:161], v[200:201]
	v_fmac_f64_e32 v[40:41], s[46:47], v[66:67]
	v_add_f64 v[38:39], v[202:203], v[38:39]
	v_mul_f64 v[202:203], v[180:181], s[48:49]
	v_fmac_f64_e32 v[42:43], s[36:37], v[148:149]
	v_add_f64 v[40:41], v[2:3], v[40:41]
	v_fma_f64 v[204:205], s[24:25], v[162:163], v[202:203]
	v_add_f64 v[40:41], v[42:43], v[40:41]
	v_fmac_f64_e32 v[44:45], s[14:15], v[140:141]
	v_add_f64 v[38:39], v[204:205], v[38:39]
	v_mul_f64 v[204:205], v[182:183], s[12:13]
	v_add_f64 v[40:41], v[44:45], v[40:41]
	v_fma_f64 v[44:45], v[156:157], s[40:41], -v[54:55]
	v_fma_f64 v[206:207], s[8:9], v[166:167], v[204:205]
	v_fma_f64 v[42:43], v[158:159], s[26:27], -v[198:199]
	v_add_f64 v[44:45], v[0:1], v[44:45]
	v_add_f64 v[38:39], v[206:207], v[38:39]
	v_mul_f64 v[206:207], v[186:187], s[38:39]
	v_fmac_f64_e32 v[46:47], s[48:49], v[132:133]
	v_add_f64 v[42:43], v[42:43], v[44:45]
	v_fma_f64 v[44:45], v[160:161], s[6:7], -v[200:201]
	v_fma_f64 v[208:209], s[20:21], v[168:169], v[206:207]
	v_add_f64 v[40:41], v[46:47], v[40:41]
	v_fmac_f64_e32 v[48:49], s[12:13], v[130:131]
	v_add_f64 v[42:43], v[44:45], v[42:43]
	v_fma_f64 v[44:45], v[162:163], s[24:25], -v[202:203]
	v_add_f64 v[38:39], v[208:209], v[38:39]
	v_mul_f64 v[208:209], v[188:189], s[16:17]
	v_add_f64 v[40:41], v[48:49], v[40:41]
	v_fmac_f64_e32 v[50:51], s[38:39], v[128:129]
	v_add_f64 v[42:43], v[44:45], v[42:43]
	v_fma_f64 v[44:45], v[166:167], s[8:9], -v[204:205]
	v_fma_f64 v[210:211], s[10:11], v[170:171], v[208:209]
	v_mul_f64 v[212:213], v[190:191], s[18:19]
	v_add_f64 v[40:41], v[50:51], v[40:41]
	v_fmac_f64_e32 v[52:53], s[16:17], v[126:127]
	v_add_f64 v[42:43], v[44:45], v[42:43]
	v_fma_f64 v[44:45], v[168:169], s[20:21], -v[206:207]
	v_add_f64 v[210:211], v[210:211], v[38:39]
	v_fma_f64 v[38:39], s[22:23], v[184:185], v[212:213]
	v_mul_f64 v[214:215], v[192:193], s[50:51]
	v_add_f64 v[40:41], v[52:53], v[40:41]
	v_add_f64 v[42:43], v[44:45], v[42:43]
	v_fma_f64 v[44:45], v[170:171], s[10:11], -v[208:209]
	v_fmac_f64_e32 v[212:213], s[50:51], v[184:185]
	v_add_f64 v[44:45], v[44:45], v[42:43]
	v_add_f64 v[42:43], v[212:213], v[40:41]
	v_fma_f64 v[40:41], v[174:175], s[18:19], -v[214:215]
	v_mul_f64 v[48:49], v[164:165], s[8:9]
	v_add_f64 v[40:41], v[40:41], v[44:45]
	v_fma_f64 v[44:45], s[52:53], v[66:67], v[48:49]
	v_mul_f64 v[50:51], v[154:155], s[10:11]
	v_add_f64 v[44:45], v[2:3], v[44:45]
	v_fma_f64 v[46:47], s[16:17], v[148:149], v[50:51]
	;; [unrolled: 3-line block ×9, first 2 shown]
	v_add_f64 v[38:39], v[38:39], v[36:37]
	v_fma_f64 v[36:37], s[18:19], v[174:175], v[214:215]
	v_add_f64 v[46:47], v[208:209], v[46:47]
	v_mul_f64 v[208:209], v[176:177], s[34:35]
	v_add_f64 v[36:37], v[36:37], v[210:211]
	v_fma_f64 v[210:211], s[26:27], v[160:161], v[208:209]
	v_fmac_f64_e32 v[48:49], s[12:13], v[66:67]
	v_add_f64 v[46:47], v[210:211], v[46:47]
	v_mul_f64 v[210:211], v[180:181], s[14:15]
	v_fmac_f64_e32 v[50:51], s[42:43], v[148:149]
	v_add_f64 v[48:49], v[2:3], v[48:49]
	v_fma_f64 v[212:213], s[6:7], v[162:163], v[210:211]
	v_add_f64 v[48:49], v[50:51], v[48:49]
	v_fmac_f64_e32 v[52:53], s[34:35], v[140:141]
	v_add_f64 v[46:47], v[212:213], v[46:47]
	v_mul_f64 v[212:213], v[182:183], s[50:51]
	v_add_f64 v[48:49], v[52:53], v[48:49]
	v_fma_f64 v[52:53], v[156:157], s[8:9], -v[204:205]
	v_fma_f64 v[214:215], s[18:19], v[166:167], v[212:213]
	v_fma_f64 v[50:51], v[158:159], s[10:11], -v[206:207]
	v_add_f64 v[52:53], v[0:1], v[52:53]
	v_add_f64 v[46:47], v[214:215], v[46:47]
	v_mul_f64 v[214:215], v[186:187], s[28:29]
	v_fmac_f64_e32 v[54:55], s[14:15], v[132:133]
	v_add_f64 v[50:51], v[50:51], v[52:53]
	v_fma_f64 v[52:53], v[160:161], s[26:27], -v[208:209]
	v_fma_f64 v[216:217], s[24:25], v[168:169], v[214:215]
	v_add_f64 v[48:49], v[54:55], v[48:49]
	v_fmac_f64_e32 v[198:199], s[50:51], v[130:131]
	v_add_f64 v[50:51], v[52:53], v[50:51]
	v_fma_f64 v[52:53], v[162:163], s[6:7], -v[210:211]
	v_add_f64 v[46:47], v[216:217], v[46:47]
	v_mul_f64 v[216:217], v[188:189], s[46:47]
	v_add_f64 v[48:49], v[198:199], v[48:49]
	v_fmac_f64_e32 v[200:201], s[28:29], v[128:129]
	v_add_f64 v[50:51], v[52:53], v[50:51]
	v_fma_f64 v[52:53], v[166:167], s[18:19], -v[212:213]
	v_fma_f64 v[218:219], s[40:41], v[170:171], v[216:217]
	v_mul_f64 v[220:221], v[190:191], s[20:21]
	v_add_f64 v[48:49], v[200:201], v[48:49]
	v_fmac_f64_e32 v[202:203], s[46:47], v[126:127]
	v_add_f64 v[50:51], v[52:53], v[50:51]
	v_fma_f64 v[52:53], v[168:169], s[24:25], -v[214:215]
	v_add_f64 v[218:219], v[218:219], v[46:47]
	v_fma_f64 v[46:47], s[30:31], v[184:185], v[220:221]
	v_mul_f64 v[222:223], v[192:193], s[38:39]
	v_add_f64 v[48:49], v[202:203], v[48:49]
	v_add_f64 v[50:51], v[52:53], v[50:51]
	v_fma_f64 v[52:53], v[170:171], s[40:41], -v[216:217]
	v_fmac_f64_e32 v[220:221], s[38:39], v[184:185]
	v_add_f64 v[52:53], v[52:53], v[50:51]
	v_add_f64 v[50:51], v[220:221], v[48:49]
	v_fma_f64 v[48:49], v[174:175], s[20:21], -v[222:223]
	v_mul_f64 v[198:199], v[164:165], s[18:19]
	v_add_f64 v[48:49], v[48:49], v[52:53]
	v_fma_f64 v[52:53], s[50:51], v[66:67], v[198:199]
	v_mul_f64 v[200:201], v[154:155], s[40:41]
	v_add_f64 v[52:53], v[2:3], v[52:53]
	v_fma_f64 v[54:55], s[54:55], v[148:149], v[200:201]
	;; [unrolled: 3-line block ×9, first 2 shown]
	v_add_f64 v[46:47], v[46:47], v[44:45]
	v_fma_f64 v[44:45], s[20:21], v[174:175], v[222:223]
	v_add_f64 v[54:55], v[216:217], v[54:55]
	v_mul_f64 v[216:217], v[176:177], s[42:43]
	v_add_f64 v[44:45], v[44:45], v[218:219]
	v_fma_f64 v[218:219], s[10:11], v[160:161], v[216:217]
	v_fmac_f64_e32 v[198:199], s[22:23], v[66:67]
	v_add_f64 v[54:55], v[218:219], v[54:55]
	v_mul_f64 v[218:219], v[180:181], s[36:37]
	v_fmac_f64_e32 v[200:201], s[46:47], v[148:149]
	v_add_f64 v[198:199], v[2:3], v[198:199]
	v_fma_f64 v[220:221], s[26:27], v[162:163], v[218:219]
	v_add_f64 v[198:199], v[200:201], v[198:199]
	v_fmac_f64_e32 v[202:203], s[42:43], v[140:141]
	v_add_f64 v[54:55], v[220:221], v[54:55]
	v_mul_f64 v[220:221], v[182:183], s[30:31]
	v_add_f64 v[198:199], v[202:203], v[198:199]
	v_fma_f64 v[202:203], v[156:157], s[18:19], -v[212:213]
	v_fma_f64 v[222:223], s[20:21], v[166:167], v[220:221]
	v_fma_f64 v[200:201], v[158:159], s[40:41], -v[214:215]
	v_add_f64 v[202:203], v[0:1], v[202:203]
	v_add_f64 v[54:55], v[222:223], v[54:55]
	v_mul_f64 v[222:223], v[186:187], s[14:15]
	v_fmac_f64_e32 v[204:205], s[36:37], v[132:133]
	v_add_f64 v[200:201], v[200:201], v[202:203]
	v_fma_f64 v[202:203], v[160:161], s[10:11], -v[216:217]
	v_fma_f64 v[224:225], s[6:7], v[168:169], v[222:223]
	v_add_f64 v[198:199], v[204:205], v[198:199]
	v_fmac_f64_e32 v[206:207], s[30:31], v[130:131]
	v_add_f64 v[200:201], v[202:203], v[200:201]
	v_fma_f64 v[202:203], v[162:163], s[26:27], -v[218:219]
	v_add_f64 v[54:55], v[224:225], v[54:55]
	v_mul_f64 v[224:225], v[188:189], s[52:53]
	v_add_f64 v[198:199], v[206:207], v[198:199]
	v_fmac_f64_e32 v[208:209], s[14:15], v[128:129]
	v_add_f64 v[200:201], v[202:203], v[200:201]
	v_fma_f64 v[202:203], v[166:167], s[20:21], -v[220:221]
	v_fma_f64 v[226:227], s[8:9], v[170:171], v[224:225]
	v_mul_f64 v[228:229], v[190:191], s[24:25]
	v_add_f64 v[198:199], v[208:209], v[198:199]
	v_fmac_f64_e32 v[210:211], s[52:53], v[126:127]
	v_add_f64 v[200:201], v[202:203], v[200:201]
	v_fma_f64 v[202:203], v[168:169], s[6:7], -v[222:223]
	v_add_f64 v[226:227], v[226:227], v[54:55]
	v_fma_f64 v[54:55], s[28:29], v[184:185], v[228:229]
	v_mul_f64 v[230:231], v[192:193], s[48:49]
	v_add_f64 v[198:199], v[210:211], v[198:199]
	v_add_f64 v[200:201], v[202:203], v[200:201]
	v_fma_f64 v[202:203], v[170:171], s[8:9], -v[224:225]
	v_fmac_f64_e32 v[228:229], s[48:49], v[184:185]
	v_add_f64 v[202:203], v[202:203], v[200:201]
	v_add_f64 v[200:201], v[228:229], v[198:199]
	v_fma_f64 v[198:199], v[174:175], s[24:25], -v[230:231]
	v_mul_f64 v[164:165], v[164:165], s[24:25]
	v_add_f64 v[198:199], v[198:199], v[202:203]
	v_mul_f64 v[154:155], v[154:155], s[18:19]
	v_fma_f64 v[202:203], s[48:49], v[66:67], v[164:165]
	v_add_f64 v[202:203], v[2:3], v[202:203]
	v_fma_f64 v[204:205], s[50:51], v[148:149], v[154:155]
	v_mul_f64 v[152:153], v[152:153], s[8:9]
	v_add_f64 v[202:203], v[204:205], v[202:203]
	v_fma_f64 v[204:205], s[52:53], v[140:141], v[152:153]
	v_mul_f64 v[150:151], v[150:151], s[40:41]
	;; [unrolled: 3-line block ×3, first 2 shown]
	v_add_f64 v[202:203], v[204:205], v[202:203]
	v_fma_f64 v[204:205], s[14:15], v[130:131], v[146:147]
	v_add_f64 v[202:203], v[204:205], v[202:203]
	v_mul_f64 v[204:205], v[144:145], s[10:11]
	v_fmac_f64_e32 v[164:165], s[28:29], v[66:67]
	v_fma_f64 v[144:145], s[16:17], v[128:129], v[204:205]
	v_fmac_f64_e32 v[154:155], s[22:23], v[148:149]
	v_add_f64 v[66:67], v[2:3], v[164:165]
	v_add_f64 v[144:145], v[144:145], v[202:203]
	v_mul_f64 v[202:203], v[142:143], s[20:21]
	v_fmac_f64_e32 v[152:153], s[12:13], v[140:141]
	v_add_f64 v[66:67], v[154:155], v[66:67]
	v_fma_f64 v[142:143], s[30:31], v[126:127], v[202:203]
	v_mul_f64 v[172:173], v[172:173], s[28:29]
	v_fmac_f64_e32 v[150:151], s[46:47], v[132:133]
	v_add_f64 v[66:67], v[152:153], v[66:67]
	v_add_f64 v[142:143], v[142:143], v[144:145]
	v_fma_f64 v[144:145], s[24:25], v[156:157], v[172:173]
	v_add_f64 v[66:67], v[150:151], v[66:67]
	v_fma_f64 v[150:151], v[156:157], s[24:25], -v[172:173]
	v_add_f64 v[144:145], v[0:1], v[144:145]
	v_add_f64 v[150:151], v[0:1], v[150:151]
	;; [unrolled: 1-line block ×16, first 2 shown]
	v_mul_f64 v[178:179], v[178:179], s[22:23]
	v_add_f64 v[2:3], v[2:3], v[82:83]
	v_add_f64 v[0:1], v[0:1], v[68:69]
	v_fma_f64 v[206:207], s[18:19], v[158:159], v[178:179]
	v_mul_f64 v[176:177], v[176:177], s[12:13]
	v_add_f64 v[2:3], v[2:3], v[70:71]
	v_add_f64 v[0:1], v[0:1], v[100:101]
	;; [unrolled: 1-line block ×3, first 2 shown]
	v_fma_f64 v[206:207], s[8:9], v[160:161], v[176:177]
	v_mul_f64 v[180:181], v[180:181], s[46:47]
	v_fmac_f64_e32 v[146:147], s[44:45], v[130:131]
	v_fma_f64 v[148:149], v[158:159], s[18:19], -v[178:179]
	v_add_f64 v[2:3], v[2:3], v[84:85]
	v_add_f64 v[0:1], v[0:1], v[102:103]
	v_add_f64 v[144:145], v[206:207], v[144:145]
	v_fma_f64 v[206:207], s[40:41], v[162:163], v[180:181]
	v_mul_f64 v[182:183], v[182:183], s[44:45]
	v_add_f64 v[66:67], v[146:147], v[66:67]
	v_fma_f64 v[146:147], v[160:161], s[8:9], -v[176:177]
	v_add_f64 v[148:149], v[148:149], v[150:151]
	v_add_f64 v[2:3], v[2:3], v[88:89]
	v_add_f64 v[0:1], v[0:1], v[106:107]
	v_add_f64 v[144:145], v[206:207], v[144:145]
	v_fma_f64 v[206:207], s[6:7], v[166:167], v[182:183]
	v_mul_f64 v[186:187], v[186:187], s[42:43]
	v_fma_f64 v[140:141], v[162:163], s[40:41], -v[180:181]
	v_add_f64 v[146:147], v[146:147], v[148:149]
	v_add_f64 v[2:3], v[2:3], v[92:93]
	v_add_f64 v[0:1], v[0:1], v[56:57]
	v_add_f64 v[144:145], v[206:207], v[144:145]
	v_fma_f64 v[206:207], s[10:11], v[168:169], v[186:187]
	v_mul_f64 v[188:189], v[188:189], s[38:39]
	;; [unrolled: 7-line block ×3, first 2 shown]
	v_fmac_f64_e32 v[204:205], s[42:43], v[128:129]
	v_fma_f64 v[130:131], v[168:169], s[10:11], -v[186:187]
	v_add_f64 v[132:133], v[132:133], v[140:141]
	v_add_f64 v[2:3], v[2:3], v[116:117]
	;; [unrolled: 1-line block ×4, first 2 shown]
	v_fma_f64 v[144:145], s[34:35], v[184:185], v[190:191]
	v_mul_f64 v[192:193], v[192:193], s[36:37]
	v_fmac_f64_e32 v[202:203], s[38:39], v[126:127]
	v_add_f64 v[66:67], v[204:205], v[66:67]
	v_fma_f64 v[128:129], v[170:171], s[20:21], -v[188:189]
	v_add_f64 v[130:131], v[130:131], v[132:133]
	v_add_f64 v[2:3], v[2:3], v[124:125]
	;; [unrolled: 1-line block ×4, first 2 shown]
	v_fma_f64 v[52:53], s[24:25], v[174:175], v[230:231]
	v_add_f64 v[144:145], v[144:145], v[142:143]
	v_fma_f64 v[142:143], s[26:27], v[174:175], v[192:193]
	v_fmac_f64_e32 v[190:191], s[36:37], v[184:185]
	v_add_f64 v[66:67], v[202:203], v[66:67]
	v_fma_f64 v[126:127], v[174:175], s[26:27], -v[192:193]
	v_add_f64 v[130:131], v[128:129], v[130:131]
	v_add_f64 v[2:3], v[2:3], v[138:139]
	v_add_f64 v[0:1], v[0:1], v[64:65]
	v_add_f64 v[52:53], v[52:53], v[226:227]
	v_add_f64 v[142:143], v[142:143], v[206:207]
	v_add_f64 v[128:129], v[190:191], v[66:67]
	v_add_f64 v[126:127], v[126:127], v[130:131]
	ds_write_b128 v194, v[0:3]
	ds_write_b128 v73, v[126:129] offset:832
	ds_write_b128 v73, v[198:201] offset:1664
	;; [unrolled: 1-line block ×16, first 2 shown]
.LBB0_20:
	s_or_b64 exec, exec, s[2:3]
	s_waitcnt lgkmcnt(0)
	s_barrier
	ds_read_b128 v[4:7], v194
	s_add_u32 s2, s4, 0x3670
	s_addc_u32 s3, s5, 0
	v_sub_u32_e32 v10, v195, v77
	v_cmp_ne_u32_e32 vcc, 0, v72
                                        ; implicit-def: $vgpr2_vgpr3
                                        ; implicit-def: $vgpr8_vgpr9
	s_and_saveexec_b64 s[4:5], vcc
	s_xor_b64 s[4:5], exec, s[4:5]
	s_cbranch_execz .LBB0_22
; %bb.21:
	v_mov_b32_e32 v73, 0
	v_lshl_add_u64 v[0:1], v[72:73], 4, s[2:3]
	global_load_dwordx4 v[12:15], v[0:1], off
	ds_read_b128 v[0:3], v10 offset:14144
	s_waitcnt lgkmcnt(0)
	v_add_f64 v[16:17], v[4:5], v[0:1]
	v_add_f64 v[0:1], v[4:5], -v[0:1]
	v_add_f64 v[8:9], v[6:7], v[2:3]
	v_add_f64 v[2:3], v[6:7], -v[2:3]
	v_mul_f64 v[6:7], v[0:1], 0.5
	v_mul_f64 v[0:1], v[2:3], 0.5
	v_mul_f64 v[4:5], v[8:9], 0.5
	s_waitcnt vmcnt(0)
	v_mul_f64 v[2:3], v[6:7], v[14:15]
	v_fma_f64 v[18:19], 0.5, v[16:17], v[2:3]
	v_fma_f64 v[8:9], v[4:5], v[14:15], v[0:1]
	v_fma_f64 v[14:15], v[4:5], v[14:15], -v[0:1]
	v_fma_f64 v[0:1], v[16:17], 0.5, -v[2:3]
	v_fmac_f64_e32 v[18:19], v[4:5], v[12:13]
	v_fma_f64 v[8:9], -v[12:13], v[6:7], v[8:9]
	v_fma_f64 v[0:1], -v[4:5], v[12:13], v[0:1]
	ds_write_b64 v194, v[18:19]
	v_fma_f64 v[2:3], -v[12:13], v[6:7], v[14:15]
                                        ; implicit-def: $vgpr4_vgpr5
.LBB0_22:
	s_andn2_saveexec_b64 s[4:5], s[4:5]
	s_cbranch_execz .LBB0_24
; %bb.23:
	ds_read_b64 v[2:3], v195 offset:7080
	v_mov_b64_e32 v[8:9], 0
	s_waitcnt lgkmcnt(1)
	v_add_f64 v[12:13], v[4:5], v[6:7]
	v_add_f64 v[0:1], v[4:5], -v[6:7]
	ds_write_b64 v194, v[12:13]
	s_waitcnt lgkmcnt(1)
	v_xor_b32_e32 v3, 0x80000000, v3
	ds_write_b64 v195, v[2:3] offset:7080
	v_mov_b64_e32 v[2:3], v[8:9]
.LBB0_24:
	s_or_b64 exec, exec, s[4:5]
	v_mov_b32_e32 v77, 0
	s_waitcnt lgkmcnt(0)
	v_lshl_add_u64 v[4:5], v[76:77], 4, s[2:3]
	global_load_dwordx4 v[4:7], v[4:5], off
	v_mov_b32_e32 v81, v77
	v_lshl_add_u64 v[12:13], v[80:81], 4, s[2:3]
	global_load_dwordx4 v[12:15], v[12:13], off
	v_mov_b32_e32 v79, v77
	v_lshl_add_u64 v[16:17], v[78:79], 4, s[2:3]
	global_load_dwordx4 v[16:19], v[16:17], off
	v_add_u32_e32 v76, 0x110, v72
	ds_write_b64 v194, v[8:9] offset:8
	ds_write_b128 v10, v[0:3] offset:14144
	v_lshl_add_u64 v[8:9], v[76:77], 4, s[2:3]
	ds_read_b128 v[0:3], v197
	ds_read_b128 v[20:23], v10 offset:13056
	global_load_dwordx4 v[24:27], v[8:9], off
	v_add_u32_e32 v76, 0x154, v72
	v_lshl_add_u32 v11, v78, 4, v195
	v_cmp_gt_u32_e32 vcc, 34, v72
	s_waitcnt lgkmcnt(0)
	v_add_f64 v[8:9], v[0:1], v[20:21]
	v_add_f64 v[0:1], v[0:1], -v[20:21]
	v_add_f64 v[28:29], v[2:3], v[22:23]
	v_add_f64 v[2:3], v[2:3], -v[22:23]
	v_mul_f64 v[22:23], v[0:1], 0.5
	v_mul_f64 v[20:21], v[28:29], 0.5
	v_mul_f64 v[0:1], v[2:3], 0.5
	s_waitcnt vmcnt(3)
	v_mul_f64 v[28:29], v[22:23], v[6:7]
	v_fma_f64 v[2:3], v[20:21], v[6:7], v[0:1]
	v_fma_f64 v[6:7], v[20:21], v[6:7], -v[0:1]
	v_fma_f64 v[0:1], 0.5, v[8:9], v[28:29]
	v_fma_f64 v[2:3], -v[4:5], v[22:23], v[2:3]
	v_fma_f64 v[8:9], v[8:9], 0.5, -v[28:29]
	v_fmac_f64_e32 v[0:1], v[20:21], v[4:5]
	v_fma_f64 v[6:7], -v[4:5], v[22:23], v[6:7]
	v_fma_f64 v[4:5], -v[20:21], v[4:5], v[8:9]
	ds_write_b128 v197, v[0:3]
	ds_write_b128 v10, v[4:7] offset:13056
	v_lshl_add_u64 v[8:9], v[76:77], 4, s[2:3]
	ds_read_b128 v[0:3], v196
	ds_read_b128 v[4:7], v10 offset:11968
	global_load_dwordx4 v[20:23], v[8:9], off
	s_waitcnt lgkmcnt(0)
	v_add_f64 v[8:9], v[0:1], v[4:5]
	v_add_f64 v[0:1], v[0:1], -v[4:5]
	v_add_f64 v[28:29], v[2:3], v[6:7]
	v_add_f64 v[2:3], v[2:3], -v[6:7]
	v_mul_f64 v[6:7], v[0:1], 0.5
	v_mul_f64 v[4:5], v[28:29], 0.5
	;; [unrolled: 1-line block ×3, first 2 shown]
	s_waitcnt vmcnt(3)
	v_mul_f64 v[28:29], v[6:7], v[14:15]
	v_fma_f64 v[2:3], v[4:5], v[14:15], v[0:1]
	v_fma_f64 v[14:15], v[4:5], v[14:15], -v[0:1]
	v_fma_f64 v[0:1], 0.5, v[8:9], v[28:29]
	v_fma_f64 v[2:3], -v[12:13], v[6:7], v[2:3]
	v_fma_f64 v[8:9], v[8:9], 0.5, -v[28:29]
	v_fmac_f64_e32 v[0:1], v[4:5], v[12:13]
	v_fma_f64 v[6:7], -v[12:13], v[6:7], v[14:15]
	v_fma_f64 v[4:5], -v[4:5], v[12:13], v[8:9]
	ds_write_b128 v196, v[0:3]
	ds_write_b128 v10, v[4:7] offset:11968
	ds_read_b128 v[0:3], v11
	ds_read_b128 v[4:7], v10 offset:10880
	s_waitcnt lgkmcnt(0)
	v_add_f64 v[8:9], v[0:1], v[4:5]
	v_add_f64 v[0:1], v[0:1], -v[4:5]
	v_add_f64 v[12:13], v[2:3], v[6:7]
	v_add_f64 v[2:3], v[2:3], -v[6:7]
	v_mul_f64 v[6:7], v[0:1], 0.5
	v_mul_f64 v[4:5], v[12:13], 0.5
	;; [unrolled: 1-line block ×3, first 2 shown]
	s_waitcnt vmcnt(2)
	v_mul_f64 v[12:13], v[6:7], v[18:19]
	v_fma_f64 v[2:3], v[4:5], v[18:19], v[0:1]
	v_fma_f64 v[14:15], v[4:5], v[18:19], -v[0:1]
	v_fma_f64 v[0:1], 0.5, v[8:9], v[12:13]
	v_fma_f64 v[2:3], -v[16:17], v[6:7], v[2:3]
	v_fma_f64 v[8:9], v[8:9], 0.5, -v[12:13]
	v_fmac_f64_e32 v[0:1], v[4:5], v[16:17]
	v_fma_f64 v[6:7], -v[16:17], v[6:7], v[14:15]
	v_fma_f64 v[4:5], -v[4:5], v[16:17], v[8:9]
	ds_write_b128 v11, v[0:3]
	ds_write_b128 v10, v[4:7] offset:10880
	ds_read_b128 v[0:3], v194 offset:4352
	ds_read_b128 v[4:7], v10 offset:9792
	s_waitcnt lgkmcnt(0)
	v_add_f64 v[8:9], v[0:1], v[4:5]
	v_add_f64 v[0:1], v[0:1], -v[4:5]
	v_add_f64 v[12:13], v[2:3], v[6:7]
	v_add_f64 v[2:3], v[2:3], -v[6:7]
	v_mul_f64 v[6:7], v[0:1], 0.5
	v_mul_f64 v[4:5], v[12:13], 0.5
	;; [unrolled: 1-line block ×3, first 2 shown]
	s_waitcnt vmcnt(1)
	v_mul_f64 v[12:13], v[6:7], v[26:27]
	v_fma_f64 v[2:3], v[4:5], v[26:27], v[0:1]
	v_fma_f64 v[14:15], v[4:5], v[26:27], -v[0:1]
	v_fma_f64 v[0:1], 0.5, v[8:9], v[12:13]
	v_fma_f64 v[2:3], -v[24:25], v[6:7], v[2:3]
	v_fma_f64 v[8:9], v[8:9], 0.5, -v[12:13]
	v_fmac_f64_e32 v[0:1], v[4:5], v[24:25]
	v_fma_f64 v[6:7], -v[24:25], v[6:7], v[14:15]
	v_fma_f64 v[4:5], -v[4:5], v[24:25], v[8:9]
	ds_write_b128 v194, v[0:3] offset:4352
	ds_write_b128 v10, v[4:7] offset:9792
	ds_read_b128 v[0:3], v194 offset:5440
	ds_read_b128 v[4:7], v10 offset:8704
	s_waitcnt lgkmcnt(0)
	v_add_f64 v[8:9], v[0:1], v[4:5]
	v_add_f64 v[0:1], v[0:1], -v[4:5]
	v_add_f64 v[12:13], v[2:3], v[6:7]
	v_add_f64 v[2:3], v[2:3], -v[6:7]
	v_mul_f64 v[6:7], v[0:1], 0.5
	v_mul_f64 v[4:5], v[12:13], 0.5
	;; [unrolled: 1-line block ×3, first 2 shown]
	s_waitcnt vmcnt(0)
	v_mul_f64 v[12:13], v[6:7], v[22:23]
	v_fma_f64 v[2:3], v[4:5], v[22:23], v[0:1]
	v_fma_f64 v[14:15], v[4:5], v[22:23], -v[0:1]
	v_fma_f64 v[0:1], 0.5, v[8:9], v[12:13]
	v_fma_f64 v[2:3], -v[20:21], v[6:7], v[2:3]
	v_fma_f64 v[8:9], v[8:9], 0.5, -v[12:13]
	v_fmac_f64_e32 v[0:1], v[4:5], v[20:21]
	v_fma_f64 v[6:7], -v[20:21], v[6:7], v[14:15]
	v_fma_f64 v[4:5], -v[4:5], v[20:21], v[8:9]
	ds_write_b128 v194, v[0:3] offset:5440
	ds_write_b128 v10, v[4:7] offset:8704
	s_and_saveexec_b64 s[4:5], vcc
	s_cbranch_execz .LBB0_26
; %bb.25:
	v_add_u32_e32 v76, 0x198, v72
	v_lshl_add_u64 v[0:1], v[76:77], 4, s[2:3]
	global_load_dwordx4 v[0:3], v[0:1], off
	ds_read_b128 v[4:7], v194 offset:6528
	ds_read_b128 v[12:15], v10 offset:7616
	s_waitcnt lgkmcnt(0)
	v_add_f64 v[8:9], v[4:5], v[12:13]
	v_add_f64 v[4:5], v[4:5], -v[12:13]
	v_add_f64 v[16:17], v[6:7], v[14:15]
	v_add_f64 v[6:7], v[6:7], -v[14:15]
	v_mul_f64 v[14:15], v[4:5], 0.5
	v_mul_f64 v[12:13], v[16:17], 0.5
	;; [unrolled: 1-line block ×3, first 2 shown]
	s_waitcnt vmcnt(0)
	v_mul_f64 v[6:7], v[14:15], v[2:3]
	v_fma_f64 v[16:17], v[12:13], v[2:3], v[4:5]
	v_fma_f64 v[18:19], v[12:13], v[2:3], -v[4:5]
	v_fma_f64 v[2:3], 0.5, v[8:9], v[6:7]
	v_fma_f64 v[4:5], -v[0:1], v[14:15], v[16:17]
	v_fma_f64 v[6:7], v[8:9], 0.5, -v[6:7]
	v_fmac_f64_e32 v[2:3], v[12:13], v[0:1]
	v_fma_f64 v[8:9], -v[0:1], v[14:15], v[18:19]
	v_fma_f64 v[6:7], -v[12:13], v[0:1], v[6:7]
	ds_write_b128 v194, v[2:5] offset:6528
	ds_write_b128 v10, v[6:9] offset:7616
.LBB0_26:
	s_or_b64 exec, exec, s[4:5]
	s_waitcnt lgkmcnt(0)
	s_barrier
	s_and_saveexec_b64 s[2:3], s[0:1]
	s_cbranch_execz .LBB0_29
; %bb.27:
	ds_read_b128 v[0:3], v194
	ds_read_b128 v[4:7], v194 offset:1088
	ds_read_b128 v[8:11], v194 offset:2176
	;; [unrolled: 1-line block ×3, first 2 shown]
	v_mov_b32_e32 v73, 0
	v_lshl_add_u64 v[16:17], v[72:73], 4, v[74:75]
	v_add_co_u32_e32 v18, vcc, 0x1000, v16
	s_waitcnt lgkmcnt(3)
	global_store_dwordx4 v[16:17], v[0:3], off
	s_waitcnt lgkmcnt(2)
	global_store_dwordx4 v[16:17], v[4:7], off offset:1088
	s_waitcnt lgkmcnt(1)
	global_store_dwordx4 v[16:17], v[8:11], off offset:2176
	;; [unrolled: 2-line block ×3, first 2 shown]
	ds_read_b128 v[0:3], v194 offset:4352
	ds_read_b128 v[4:7], v194 offset:5440
	;; [unrolled: 1-line block ×4, first 2 shown]
	v_addc_co_u32_e32 v19, vcc, 0, v17, vcc
	s_movk_i32 s0, 0x43
	s_waitcnt lgkmcnt(3)
	global_store_dwordx4 v[18:19], v[0:3], off offset:256
	s_waitcnt lgkmcnt(2)
	global_store_dwordx4 v[18:19], v[4:7], off offset:1344
	;; [unrolled: 2-line block ×4, first 2 shown]
	ds_read_b128 v[0:3], v194 offset:8704
	ds_read_b128 v[4:7], v194 offset:9792
	;; [unrolled: 1-line block ×4, first 2 shown]
	v_add_co_u32_e32 v18, vcc, 0x2000, v16
	s_nop 1
	v_addc_co_u32_e32 v19, vcc, 0, v17, vcc
	s_waitcnt lgkmcnt(3)
	global_store_dwordx4 v[18:19], v[0:3], off offset:512
	s_waitcnt lgkmcnt(2)
	global_store_dwordx4 v[18:19], v[4:7], off offset:1600
	;; [unrolled: 2-line block ×4, first 2 shown]
	ds_read_b128 v[0:3], v194 offset:13056
	v_add_co_u32_e32 v4, vcc, 0x3000, v16
	s_nop 1
	v_addc_co_u32_e32 v5, vcc, 0, v17, vcc
	v_cmp_eq_u32_e32 vcc, s0, v72
	s_waitcnt lgkmcnt(0)
	global_store_dwordx4 v[4:5], v[0:3], off offset:768
	s_and_b64 exec, exec, vcc
	s_cbranch_execz .LBB0_29
; %bb.28:
	ds_read_b128 v[0:3], v194 offset:13072
	v_add_co_u32_e32 v4, vcc, 0x3000, v74
	s_nop 1
	v_addc_co_u32_e32 v5, vcc, 0, v75, vcc
	s_waitcnt lgkmcnt(0)
	global_store_dwordx4 v[4:5], v[0:3], off offset:1856
.LBB0_29:
	s_endpgm
	.section	.rodata,"a",@progbits
	.p2align	6, 0x0
	.amdhsa_kernel fft_rtc_fwd_len884_factors_13_4_17_wgs_204_tpt_68_halfLds_dp_ip_CI_unitstride_sbrr_R2C_dirReg
		.amdhsa_group_segment_fixed_size 0
		.amdhsa_private_segment_fixed_size 0
		.amdhsa_kernarg_size 88
		.amdhsa_user_sgpr_count 2
		.amdhsa_user_sgpr_dispatch_ptr 0
		.amdhsa_user_sgpr_queue_ptr 0
		.amdhsa_user_sgpr_kernarg_segment_ptr 1
		.amdhsa_user_sgpr_dispatch_id 0
		.amdhsa_user_sgpr_kernarg_preload_length 0
		.amdhsa_user_sgpr_kernarg_preload_offset 0
		.amdhsa_user_sgpr_private_segment_size 0
		.amdhsa_uses_dynamic_stack 0
		.amdhsa_enable_private_segment 0
		.amdhsa_system_sgpr_workgroup_id_x 1
		.amdhsa_system_sgpr_workgroup_id_y 0
		.amdhsa_system_sgpr_workgroup_id_z 0
		.amdhsa_system_sgpr_workgroup_info 0
		.amdhsa_system_vgpr_workitem_id 0
		.amdhsa_next_free_vgpr 232
		.amdhsa_next_free_sgpr 56
		.amdhsa_accum_offset 232
		.amdhsa_reserve_vcc 1
		.amdhsa_float_round_mode_32 0
		.amdhsa_float_round_mode_16_64 0
		.amdhsa_float_denorm_mode_32 3
		.amdhsa_float_denorm_mode_16_64 3
		.amdhsa_dx10_clamp 1
		.amdhsa_ieee_mode 1
		.amdhsa_fp16_overflow 0
		.amdhsa_tg_split 0
		.amdhsa_exception_fp_ieee_invalid_op 0
		.amdhsa_exception_fp_denorm_src 0
		.amdhsa_exception_fp_ieee_div_zero 0
		.amdhsa_exception_fp_ieee_overflow 0
		.amdhsa_exception_fp_ieee_underflow 0
		.amdhsa_exception_fp_ieee_inexact 0
		.amdhsa_exception_int_div_zero 0
	.end_amdhsa_kernel
	.text
.Lfunc_end0:
	.size	fft_rtc_fwd_len884_factors_13_4_17_wgs_204_tpt_68_halfLds_dp_ip_CI_unitstride_sbrr_R2C_dirReg, .Lfunc_end0-fft_rtc_fwd_len884_factors_13_4_17_wgs_204_tpt_68_halfLds_dp_ip_CI_unitstride_sbrr_R2C_dirReg
                                        ; -- End function
	.section	.AMDGPU.csdata,"",@progbits
; Kernel info:
; codeLenInByte = 15396
; NumSgprs: 62
; NumVgprs: 232
; NumAgprs: 0
; TotalNumVgprs: 232
; ScratchSize: 0
; MemoryBound: 0
; FloatMode: 240
; IeeeMode: 1
; LDSByteSize: 0 bytes/workgroup (compile time only)
; SGPRBlocks: 7
; VGPRBlocks: 28
; NumSGPRsForWavesPerEU: 62
; NumVGPRsForWavesPerEU: 232
; AccumOffset: 232
; Occupancy: 2
; WaveLimiterHint : 1
; COMPUTE_PGM_RSRC2:SCRATCH_EN: 0
; COMPUTE_PGM_RSRC2:USER_SGPR: 2
; COMPUTE_PGM_RSRC2:TRAP_HANDLER: 0
; COMPUTE_PGM_RSRC2:TGID_X_EN: 1
; COMPUTE_PGM_RSRC2:TGID_Y_EN: 0
; COMPUTE_PGM_RSRC2:TGID_Z_EN: 0
; COMPUTE_PGM_RSRC2:TIDIG_COMP_CNT: 0
; COMPUTE_PGM_RSRC3_GFX90A:ACCUM_OFFSET: 57
; COMPUTE_PGM_RSRC3_GFX90A:TG_SPLIT: 0
	.text
	.p2alignl 6, 3212836864
	.fill 256, 4, 3212836864
	.type	__hip_cuid_d70b07fc07e6ab19,@object ; @__hip_cuid_d70b07fc07e6ab19
	.section	.bss,"aw",@nobits
	.globl	__hip_cuid_d70b07fc07e6ab19
__hip_cuid_d70b07fc07e6ab19:
	.byte	0                               ; 0x0
	.size	__hip_cuid_d70b07fc07e6ab19, 1

	.ident	"AMD clang version 19.0.0git (https://github.com/RadeonOpenCompute/llvm-project roc-6.4.0 25133 c7fe45cf4b819c5991fe208aaa96edf142730f1d)"
	.section	".note.GNU-stack","",@progbits
	.addrsig
	.addrsig_sym __hip_cuid_d70b07fc07e6ab19
	.amdgpu_metadata
---
amdhsa.kernels:
  - .agpr_count:     0
    .args:
      - .actual_access:  read_only
        .address_space:  global
        .offset:         0
        .size:           8
        .value_kind:     global_buffer
      - .offset:         8
        .size:           8
        .value_kind:     by_value
      - .actual_access:  read_only
        .address_space:  global
        .offset:         16
        .size:           8
        .value_kind:     global_buffer
      - .actual_access:  read_only
        .address_space:  global
        .offset:         24
        .size:           8
        .value_kind:     global_buffer
      - .offset:         32
        .size:           8
        .value_kind:     by_value
      - .actual_access:  read_only
        .address_space:  global
        .offset:         40
        .size:           8
        .value_kind:     global_buffer
      - .actual_access:  read_only
        .address_space:  global
        .offset:         48
        .size:           8
        .value_kind:     global_buffer
      - .offset:         56
        .size:           4
        .value_kind:     by_value
      - .actual_access:  read_only
        .address_space:  global
        .offset:         64
        .size:           8
        .value_kind:     global_buffer
      - .actual_access:  read_only
        .address_space:  global
        .offset:         72
        .size:           8
        .value_kind:     global_buffer
      - .address_space:  global
        .offset:         80
        .size:           8
        .value_kind:     global_buffer
    .group_segment_fixed_size: 0
    .kernarg_segment_align: 8
    .kernarg_segment_size: 88
    .language:       OpenCL C
    .language_version:
      - 2
      - 0
    .max_flat_workgroup_size: 204
    .name:           fft_rtc_fwd_len884_factors_13_4_17_wgs_204_tpt_68_halfLds_dp_ip_CI_unitstride_sbrr_R2C_dirReg
    .private_segment_fixed_size: 0
    .sgpr_count:     62
    .sgpr_spill_count: 0
    .symbol:         fft_rtc_fwd_len884_factors_13_4_17_wgs_204_tpt_68_halfLds_dp_ip_CI_unitstride_sbrr_R2C_dirReg.kd
    .uniform_work_group_size: 1
    .uses_dynamic_stack: false
    .vgpr_count:     232
    .vgpr_spill_count: 0
    .wavefront_size: 64
amdhsa.target:   amdgcn-amd-amdhsa--gfx950
amdhsa.version:
  - 1
  - 2
...

	.end_amdgpu_metadata
